;; amdgpu-corpus repo=ROCm/rocFFT kind=compiled arch=gfx950 opt=O3
	.text
	.amdgcn_target "amdgcn-amd-amdhsa--gfx950"
	.amdhsa_code_object_version 6
	.protected	bluestein_single_back_len704_dim1_sp_op_CI_CI ; -- Begin function bluestein_single_back_len704_dim1_sp_op_CI_CI
	.globl	bluestein_single_back_len704_dim1_sp_op_CI_CI
	.p2align	8
	.type	bluestein_single_back_len704_dim1_sp_op_CI_CI,@function
bluestein_single_back_len704_dim1_sp_op_CI_CI: ; @bluestein_single_back_len704_dim1_sp_op_CI_CI
; %bb.0:
	s_load_dwordx4 s[16:19], s[0:1], 0x28
	v_mul_u32_u24_e32 v1, 0x2e9, v0
	v_lshrrev_b32_e32 v1, 16, v1
	v_lshl_add_u32 v46, s2, 1, v1
	v_mov_b32_e32 v47, 0
	s_waitcnt lgkmcnt(0)
	v_cmp_gt_u64_e32 vcc, s[16:17], v[46:47]
	s_and_saveexec_b64 s[2:3], vcc
	s_cbranch_execz .LBB0_10
; %bb.1:
	s_load_dwordx4 s[4:7], s[0:1], 0x18
	s_load_dwordx4 s[8:11], s[0:1], 0x0
	v_mul_lo_u16_e32 v4, 0x58, v1
	v_sub_u16_e32 v160, v0, v4
	v_mov_b32_e32 v2, s18
	s_waitcnt lgkmcnt(0)
	s_load_dwordx4 s[12:15], s[4:5], 0x0
	v_mov_b32_e32 v3, s19
	v_mov_b32_e32 v20, 0xfffff7c0
	v_lshlrev_b32_e32 v62, 3, v160
	v_mov_b32_e32 v63, v47
	s_waitcnt lgkmcnt(0)
	v_mad_u64_u32 v[4:5], s[2:3], s14, v46, 0
	v_mov_b32_e32 v0, v5
	v_mad_u64_u32 v[6:7], s[2:3], s15, v46, v[0:1]
	v_mov_b32_e32 v5, v6
	v_mad_u64_u32 v[6:7], s[2:3], s12, v160, 0
	v_mov_b32_e32 v0, v7
	v_mad_u64_u32 v[8:9], s[2:3], s13, v160, v[0:1]
	v_mov_b32_e32 v7, v8
	v_lshl_add_u64 v[2:3], v[4:5], 3, v[2:3]
	v_lshl_add_u64 v[2:3], v[6:7], 3, v[2:3]
	v_mov_b32_e32 v0, 0xb00
	global_load_dwordx2 v[4:5], v[2:3], off
	v_mad_u64_u32 v[2:3], s[2:3], s12, v0, v[2:3]
	s_mul_i32 s4, s13, 0xb00
	v_add_u32_e32 v3, s4, v3
	global_load_dwordx2 v[8:9], v[2:3], off
	v_mad_u64_u32 v[2:3], s[2:3], s12, v20, v[2:3]
	s_mul_i32 s2, s13, 0xfffff7c0
	s_sub_i32 s5, s2, s12
	v_add_u32_e32 v3, s5, v3
	v_mad_u64_u32 v[10:11], s[2:3], s12, v0, v[2:3]
	v_add_u32_e32 v11, s4, v11
	v_mad_u64_u32 v[12:13], s[2:3], s12, v20, v[10:11]
	v_add_u32_e32 v13, s5, v13
	global_load_dwordx2 v[56:57], v62, s[8:9]
	global_load_dwordx2 v[52:53], v62, s[8:9] offset:704
	global_load_dwordx2 v[54:55], v62, s[8:9] offset:2816
	;; [unrolled: 1-line block ×3, first 2 shown]
	global_load_dwordx2 v[14:15], v[2:3], off
	global_load_dwordx2 v[16:17], v[10:11], off
	;; [unrolled: 1-line block ×3, first 2 shown]
	global_load_dwordx2 v[48:49], v62, s[8:9] offset:1408
	v_mad_u64_u32 v[2:3], s[2:3], s12, v0, v[12:13]
	v_lshl_add_u64 v[6:7], s[8:9], 0, v[62:63]
	s_movk_i32 s2, 0x1000
	v_add_co_u32_e32 v6, vcc, s2, v6
	v_add_u32_e32 v3, s4, v3
	s_nop 0
	v_addc_co_u32_e32 v7, vcc, 0, v7, vcc
	global_load_dwordx2 v[10:11], v[2:3], off
	global_load_dwordx2 v[44:45], v[6:7], off offset:128
	v_mad_u64_u32 v[2:3], s[2:3], s12, v20, v[2:3]
	v_add_u32_e32 v3, s5, v3
	global_load_dwordx2 v[12:13], v[2:3], off
	global_load_dwordx2 v[42:43], v62, s[8:9] offset:2112
	v_mad_u64_u32 v[2:3], s[2:3], s12, v0, v[2:3]
	v_add_u32_e32 v3, s4, v3
	global_load_dwordx2 v[40:41], v[6:7], off offset:832
	global_load_dwordx2 v[20:21], v[2:3], off
	v_and_b32_e32 v0, 1, v1
	v_mov_b32_e32 v1, 0x2c0
	v_cmp_eq_u32_e32 vcc, 1, v0
	s_load_dwordx4 s[4:7], s[6:7], 0x0
	v_lshlrev_b32_e32 v28, 1, v160
	v_cndmask_b32_e32 v179, 0, v1, vcc
	v_lshlrev_b32_e32 v161, 3, v179
	v_add_u32_e32 v47, v161, v62
	v_add_u32_e32 v6, 0xc00, v47
	;; [unrolled: 1-line block ×5, first 2 shown]
	v_lshl_add_u32 v162, v160, 4, v161
	v_add_u32_e32 v29, 0xb0, v28
	v_add_u32_e32 v31, 0x160, v28
	;; [unrolled: 1-line block ×3, first 2 shown]
	v_lshl_add_u32 v163, v29, 3, v161
	v_lshl_add_u32 v164, v31, 3, v161
	;; [unrolled: 1-line block ×3, first 2 shown]
	s_movk_i32 s2, 0xfc
	s_movk_i32 s3, 0x1fc
	;; [unrolled: 1-line block ×3, first 2 shown]
	v_and_b32_e32 v33, 3, v160
	v_and_b32_e32 v34, 7, v160
	v_lshlrev_b32_e32 v35, 3, v34
	s_movk_i32 s13, 0x1f0
	s_movk_i32 s14, 0x3f0
	v_cmp_gt_u16_e32 vcc, 64, v160
                                        ; implicit-def: $vgpr68
                                        ; implicit-def: $vgpr70
                                        ; implicit-def: $vgpr66
                                        ; implicit-def: $vgpr72
                                        ; implicit-def: $vgpr36
	s_waitcnt vmcnt(13)
	v_mul_f32_e32 v0, v5, v57
	s_waitcnt vmcnt(11)
	v_mul_f32_e32 v2, v9, v55
	v_mul_f32_e32 v3, v8, v55
	v_fmac_f32_e32 v2, v8, v54
	v_fma_f32 v3, v9, v54, -v3
	v_mul_f32_e32 v1, v4, v57
	ds_write_b64 v47, v[2:3] offset:2816
	s_waitcnt vmcnt(9)
	v_mul_f32_e32 v2, v15, v53
	v_mul_f32_e32 v3, v14, v53
	v_fmac_f32_e32 v0, v4, v56
	v_fma_f32 v1, v5, v56, -v1
	v_fmac_f32_e32 v2, v14, v52
	v_fma_f32 v3, v15, v52, -v3
	ds_write2_b64 v47, v[0:1], v[2:3] offset1:88
	s_waitcnt vmcnt(8)
	v_mul_f32_e32 v0, v17, v51
	v_mul_f32_e32 v1, v16, v51
	s_waitcnt vmcnt(4)
	v_mul_f32_e32 v4, v11, v45
	v_mul_f32_e32 v5, v10, v45
	v_fmac_f32_e32 v0, v16, v50
	v_fma_f32 v1, v17, v50, -v1
	v_fmac_f32_e32 v4, v10, v44
	v_fma_f32 v5, v11, v44, -v5
	v_mul_f32_e32 v2, v19, v49
	v_mul_f32_e32 v3, v18, v49
	ds_write2_b64 v6, v[0:1], v[4:5] offset0:56 offset1:144
	s_waitcnt vmcnt(2)
	v_mul_f32_e32 v0, v13, v43
	v_mul_f32_e32 v1, v12, v43
	v_fmac_f32_e32 v2, v18, v48
	v_fma_f32 v3, v19, v48, -v3
	v_fmac_f32_e32 v0, v12, v42
	v_fma_f32 v1, v13, v42, -v1
	ds_write2_b64 v26, v[2:3], v[0:1] offset0:48 offset1:136
	s_waitcnt vmcnt(0)
	v_mul_f32_e32 v0, v21, v41
	v_mul_f32_e32 v1, v20, v41
	v_fmac_f32_e32 v0, v20, v40
	v_fma_f32 v1, v21, v40, -v1
	ds_write_b64 v47, v[0:1] offset:4928
	s_waitcnt lgkmcnt(0)
	s_barrier
	ds_read2_b64 v[0:3], v47 offset1:88
	ds_read2_b64 v[4:7], v27 offset0:96 offset1:184
	ds_read2_b64 v[12:15], v26 offset0:48 offset1:136
	;; [unrolled: 1-line block ×3, first 2 shown]
	s_waitcnt lgkmcnt(0)
	s_barrier
	v_pk_add_f32 v[10:11], v[0:1], v[4:5] neg_lo:[0,1] neg_hi:[0,1]
	v_pk_add_f32 v[4:5], v[2:3], v[6:7] neg_lo:[0,1] neg_hi:[0,1]
	v_pk_fma_f32 v[8:9], v[0:1], 2.0, v[10:11] op_sel_hi:[1,0,1] neg_lo:[0,0,1] neg_hi:[0,0,1]
	v_and_b32_e32 v0, 1, v160
	v_pk_add_f32 v[22:23], v[12:13], v[16:17] neg_lo:[0,1] neg_hi:[0,1]
	v_pk_add_f32 v[16:17], v[14:15], v[18:19] neg_lo:[0,1] neg_hi:[0,1]
	v_lshlrev_b32_e32 v1, 3, v0
	v_pk_fma_f32 v[2:3], v[2:3], 2.0, v[4:5] op_sel_hi:[1,0,1] neg_lo:[0,0,1] neg_hi:[0,0,1]
	v_pk_fma_f32 v[20:21], v[12:13], 2.0, v[22:23] op_sel_hi:[1,0,1] neg_lo:[0,0,1] neg_hi:[0,0,1]
	;; [unrolled: 1-line block ×3, first 2 shown]
	ds_write_b128 v162, v[8:11]
	ds_write_b128 v163, v[2:5]
	;; [unrolled: 1-line block ×4, first 2 shown]
	s_waitcnt lgkmcnt(0)
	s_barrier
	global_load_dwordx2 v[58:59], v1, s[10:11]
	v_and_or_b32 v1, v28, s2, v0
	v_lshl_add_u32 v166, v1, 3, v161
	v_and_or_b32 v1, v29, s3, v0
	v_and_or_b32 v2, v31, s12, v0
	;; [unrolled: 1-line block ×3, first 2 shown]
	v_lshl_add_u32 v167, v1, 3, v161
	v_lshl_add_u32 v168, v2, 3, v161
	;; [unrolled: 1-line block ×3, first 2 shown]
	ds_read2_b64 v[0:3], v30 offset0:16 offset1:104
	ds_read2_b64 v[4:7], v27 offset0:96 offset1:184
	;; [unrolled: 1-line block ×3, first 2 shown]
	ds_read2_b64 v[12:15], v47 offset1:88
	s_waitcnt lgkmcnt(0)
	s_barrier
	s_movk_i32 s2, 0xf8
	s_movk_i32 s3, 0x1f8
	;; [unrolled: 1-line block ×3, first 2 shown]
	s_waitcnt vmcnt(0)
	v_pk_mul_f32 v[16:17], v[2:3], v[58:59] op_sel:[0,1]
	v_pk_mul_f32 v[18:19], v[0:1], v[58:59] op_sel:[0,1]
	;; [unrolled: 1-line block ×4, first 2 shown]
	v_pk_fma_f32 v[24:25], v[2:3], v[58:59], v[16:17] op_sel:[0,0,1] op_sel_hi:[1,1,0] neg_lo:[0,0,1] neg_hi:[0,0,1]
	v_pk_fma_f32 v[2:3], v[2:3], v[58:59], v[16:17] op_sel:[0,0,1] op_sel_hi:[1,0,0]
	v_pk_fma_f32 v[16:17], v[0:1], v[58:59], v[18:19] op_sel:[0,0,1] op_sel_hi:[1,1,0] neg_lo:[0,0,1] neg_hi:[0,0,1]
	v_pk_fma_f32 v[0:1], v[0:1], v[58:59], v[18:19] op_sel:[0,0,1] op_sel_hi:[1,0,0]
	;; [unrolled: 2-line block ×4, first 2 shown]
	v_mov_b32_e32 v25, v3
	v_mov_b32_e32 v21, v5
	;; [unrolled: 1-line block ×4, first 2 shown]
	v_pk_add_f32 v[6:7], v[12:13], v[20:21] neg_lo:[0,1] neg_hi:[0,1]
	v_pk_add_f32 v[0:1], v[10:11], v[24:25] neg_lo:[0,1] neg_hi:[0,1]
	;; [unrolled: 1-line block ×4, first 2 shown]
	v_pk_fma_f32 v[12:13], v[12:13], 2.0, v[6:7] op_sel_hi:[1,0,1] neg_lo:[0,0,1] neg_hi:[0,0,1]
	v_pk_fma_f32 v[10:11], v[10:11], 2.0, v[0:1] op_sel_hi:[1,0,1] neg_lo:[0,0,1] neg_hi:[0,0,1]
	;; [unrolled: 1-line block ×4, first 2 shown]
	ds_write2_b64 v166, v[12:13], v[6:7] offset1:2
	ds_write2_b64 v167, v[14:15], v[4:5] offset1:2
	;; [unrolled: 1-line block ×4, first 2 shown]
	v_lshlrev_b32_e32 v0, 3, v33
	s_waitcnt lgkmcnt(0)
	s_barrier
	global_load_dwordx2 v[60:61], v0, s[10:11] offset:16
	v_and_or_b32 v0, v28, s2, v33
	v_lshl_add_u32 v170, v0, 3, v161
	v_and_or_b32 v0, v29, s3, v33
	v_and_or_b32 v1, v31, s12, v33
	;; [unrolled: 1-line block ×3, first 2 shown]
	v_lshl_add_u32 v171, v0, 3, v161
	v_lshl_add_u32 v172, v1, 3, v161
	;; [unrolled: 1-line block ×3, first 2 shown]
	ds_read2_b64 v[0:3], v30 offset0:16 offset1:104
	ds_read2_b64 v[4:7], v27 offset0:96 offset1:184
	ds_read2_b64 v[8:11], v47 offset1:88
	ds_read2_b64 v[12:15], v26 offset0:48 offset1:136
	s_waitcnt lgkmcnt(0)
	s_barrier
	s_movk_i32 s12, 0xf0
	s_load_dwordx2 s[2:3], s[0:1], 0x38
	s_waitcnt vmcnt(0)
	v_pk_mul_f32 v[16:17], v[2:3], v[60:61] op_sel:[0,1]
	v_pk_mul_f32 v[18:19], v[0:1], v[60:61] op_sel:[0,1]
	;; [unrolled: 1-line block ×4, first 2 shown]
	v_pk_fma_f32 v[24:25], v[2:3], v[60:61], v[16:17] op_sel:[0,0,1] op_sel_hi:[1,1,0] neg_lo:[0,0,1] neg_hi:[0,0,1]
	v_pk_fma_f32 v[2:3], v[2:3], v[60:61], v[16:17] op_sel:[0,0,1] op_sel_hi:[1,0,0]
	v_pk_fma_f32 v[16:17], v[0:1], v[60:61], v[18:19] op_sel:[0,0,1] op_sel_hi:[1,1,0] neg_lo:[0,0,1] neg_hi:[0,0,1]
	v_pk_fma_f32 v[0:1], v[0:1], v[60:61], v[18:19] op_sel:[0,0,1] op_sel_hi:[1,0,0]
	v_pk_fma_f32 v[18:19], v[6:7], v[60:61], v[20:21] op_sel:[0,0,1] op_sel_hi:[1,1,0] neg_lo:[0,0,1] neg_hi:[0,0,1]
	v_pk_fma_f32 v[6:7], v[6:7], v[60:61], v[20:21] op_sel:[0,0,1] op_sel_hi:[1,0,0]
	v_pk_fma_f32 v[20:21], v[4:5], v[60:61], v[22:23] op_sel:[0,0,1] op_sel_hi:[1,1,0] neg_lo:[0,0,1] neg_hi:[0,0,1]
	v_pk_fma_f32 v[4:5], v[4:5], v[60:61], v[22:23] op_sel:[0,0,1] op_sel_hi:[1,0,0]
	v_mov_b32_e32 v19, v7
	v_mov_b32_e32 v21, v5
	;; [unrolled: 1-line block ×4, first 2 shown]
	v_pk_add_f32 v[0:1], v[8:9], v[20:21] neg_lo:[0,1] neg_hi:[0,1]
	v_pk_add_f32 v[2:3], v[10:11], v[18:19] neg_lo:[0,1] neg_hi:[0,1]
	;; [unrolled: 1-line block ×4, first 2 shown]
	v_pk_fma_f32 v[8:9], v[8:9], 2.0, v[0:1] op_sel_hi:[1,0,1] neg_lo:[0,0,1] neg_hi:[0,0,1]
	v_pk_fma_f32 v[10:11], v[10:11], 2.0, v[2:3] op_sel_hi:[1,0,1] neg_lo:[0,0,1] neg_hi:[0,0,1]
	v_pk_fma_f32 v[14:15], v[14:15], 2.0, v[4:5] op_sel_hi:[1,0,1] neg_lo:[0,0,1] neg_hi:[0,0,1]
	v_pk_fma_f32 v[12:13], v[12:13], 2.0, v[6:7] op_sel_hi:[1,0,1] neg_lo:[0,0,1] neg_hi:[0,0,1]
	ds_write2_b64 v170, v[8:9], v[0:1] offset1:4
	ds_write2_b64 v171, v[10:11], v[2:3] offset1:4
	;; [unrolled: 1-line block ×4, first 2 shown]
	s_waitcnt lgkmcnt(0)
	s_barrier
	global_load_dwordx2 v[64:65], v35, s[10:11] offset:48
	v_and_or_b32 v0, v28, s12, v34
	v_and_or_b32 v1, v29, s13, v34
	;; [unrolled: 1-line block ×4, first 2 shown]
	v_lshl_add_u32 v174, v0, 3, v161
	v_lshl_add_u32 v175, v1, 3, v161
	;; [unrolled: 1-line block ×4, first 2 shown]
	ds_read2_b64 v[0:3], v27 offset0:96 offset1:184
	ds_read2_b64 v[4:7], v30 offset0:16 offset1:104
	ds_read2_b64 v[8:11], v47 offset1:88
	ds_read2_b64 v[12:15], v26 offset0:48 offset1:136
	s_waitcnt lgkmcnt(0)
	s_barrier
	s_waitcnt vmcnt(0)
	v_pk_mul_f32 v[16:17], v[0:1], v[64:65] op_sel:[0,1]
	v_pk_mul_f32 v[18:19], v[2:3], v[64:65] op_sel:[0,1]
	;; [unrolled: 1-line block ×4, first 2 shown]
	v_pk_fma_f32 v[24:25], v[0:1], v[64:65], v[16:17] op_sel:[0,0,1] op_sel_hi:[1,1,0] neg_lo:[0,0,1] neg_hi:[0,0,1]
	v_pk_fma_f32 v[0:1], v[0:1], v[64:65], v[16:17] op_sel:[0,0,1] op_sel_hi:[1,0,0]
	v_pk_fma_f32 v[16:17], v[2:3], v[64:65], v[18:19] op_sel:[0,0,1] op_sel_hi:[1,1,0] neg_lo:[0,0,1] neg_hi:[0,0,1]
	v_pk_fma_f32 v[2:3], v[2:3], v[64:65], v[18:19] op_sel:[0,0,1] op_sel_hi:[1,0,0]
	;; [unrolled: 2-line block ×4, first 2 shown]
	v_mov_b32_e32 v25, v1
	v_mov_b32_e32 v17, v3
	;; [unrolled: 1-line block ×4, first 2 shown]
	v_pk_add_f32 v[26:27], v[8:9], v[24:25] neg_lo:[0,1] neg_hi:[0,1]
	v_pk_add_f32 v[22:23], v[10:11], v[16:17] neg_lo:[0,1] neg_hi:[0,1]
	;; [unrolled: 1-line block ×4, first 2 shown]
	v_pk_fma_f32 v[24:25], v[8:9], 2.0, v[26:27] op_sel_hi:[1,0,1] neg_lo:[0,0,1] neg_hi:[0,0,1]
	v_pk_fma_f32 v[20:21], v[10:11], 2.0, v[22:23] op_sel_hi:[1,0,1] neg_lo:[0,0,1] neg_hi:[0,0,1]
	;; [unrolled: 1-line block ×4, first 2 shown]
	ds_write2_b64 v174, v[24:25], v[26:27] offset1:8
	ds_write2_b64 v175, v[20:21], v[22:23] offset1:8
	;; [unrolled: 1-line block ×4, first 2 shown]
	s_waitcnt lgkmcnt(0)
	s_barrier
	s_and_saveexec_b64 s[0:1], vcc
	s_cbranch_execz .LBB0_3
; %bb.2:
	v_or_b32_e32 v0, v179, v160
	v_lshlrev_b32_e32 v0, 3, v0
	ds_read2st64_b64 v[24:27], v0 offset1:1
	ds_read2st64_b64 v[20:23], v0 offset0:2 offset1:3
	ds_read2st64_b64 v[36:39], v0 offset0:8 offset1:9
	ds_read_b64 v[66:67], v0 offset:5120
	ds_read2st64_b64 v[32:35], v0 offset0:4 offset1:5
	ds_read2st64_b64 v[28:31], v0 offset0:6 offset1:7
	s_waitcnt lgkmcnt(3)
	v_mov_b32_e32 v68, v37
	v_mov_b32_e32 v70, v39
	s_waitcnt lgkmcnt(2)
	v_mov_b32_e32 v72, v67
.LBB0_3:
	s_or_b64 exec, exec, s[0:1]
	v_and_b32_e32 v178, 15, v160
	s_movk_i32 s0, 0x50
	v_mov_b64_e32 v[0:1], s[10:11]
	v_mad_u64_u32 v[74:75], s[0:1], v178, s0, v[0:1]
	global_load_dwordx4 v[0:3], v[74:75], off offset:112
	global_load_dwordx4 v[8:11], v[74:75], off offset:128
	;; [unrolled: 1-line block ×5, first 2 shown]
	s_mov_b32 s12, 0xbf7d64f0
	s_mov_b32 s0, 0xbe11bafb
	;; [unrolled: 1-line block ×13, first 2 shown]
	v_mov_b32_e32 v63, 0
	s_waitcnt lgkmcnt(0)
	s_barrier
	s_waitcnt vmcnt(4)
	v_pk_mul_f32 v[106:107], v[26:27], v[0:1] op_sel:[1,0]
	v_pk_mul_f32 v[74:75], v[20:21], v[2:3] op_sel:[1,0]
	v_pk_fma_f32 v[104:105], v[26:27], v[0:1], v[106:107] op_sel:[0,0,1] op_sel_hi:[1,1,0] neg_lo:[0,0,1] neg_hi:[0,0,1]
	v_pk_fma_f32 v[26:27], v[26:27], v[0:1], v[106:107] op_sel:[0,0,1] op_sel_hi:[0,1,0]
	s_waitcnt vmcnt(0)
	v_pk_mul_f32 v[72:73], v[72:73], v[18:19] op_sel_hi:[0,1]
	v_pk_mul_f32 v[70:71], v[70:71], v[16:17] op_sel_hi:[0,1]
	v_pk_fma_f32 v[102:103], v[66:67], v[18:19], v[72:73] op_sel:[0,0,1] op_sel_hi:[1,1,0] neg_lo:[0,0,1] neg_hi:[0,0,1]
	v_pk_fma_f32 v[66:67], v[66:67], v[18:19], v[72:73] op_sel:[0,0,1] op_sel_hi:[0,1,0]
	v_pk_mul_f32 v[76:77], v[22:23], v[8:9] op_sel:[1,0]
	v_pk_mul_f32 v[68:69], v[68:69], v[14:15] op_sel_hi:[0,1]
	v_pk_fma_f32 v[82:83], v[20:21], v[2:3], v[74:75] op_sel:[0,0,1] op_sel_hi:[1,1,0] neg_lo:[0,0,1] neg_hi:[0,0,1]
	v_pk_fma_f32 v[20:21], v[20:21], v[2:3], v[74:75] op_sel:[0,0,1] op_sel_hi:[0,1,0]
	v_pk_fma_f32 v[100:101], v[38:39], v[16:17], v[70:71] op_sel:[0,0,1] op_sel_hi:[1,1,0] neg_lo:[0,0,1] neg_hi:[0,0,1]
	v_pk_fma_f32 v[38:39], v[38:39], v[16:17], v[70:71] op_sel:[0,0,1] op_sel_hi:[0,1,0]
	v_mov_b32_e32 v105, v27
	v_mov_b32_e32 v103, v67
	v_pk_fma_f32 v[88:89], v[22:23], v[8:9], v[76:77] op_sel:[0,0,1] op_sel_hi:[1,1,0] neg_lo:[0,0,1] neg_hi:[0,0,1]
	v_pk_fma_f32 v[22:23], v[22:23], v[8:9], v[76:77] op_sel:[0,0,1] op_sel_hi:[0,1,0]
	v_pk_fma_f32 v[98:99], v[36:37], v[14:15], v[68:69] op_sel:[0,0,1] op_sel_hi:[1,1,0] neg_lo:[0,0,1] neg_hi:[0,0,1]
	v_pk_fma_f32 v[36:37], v[36:37], v[14:15], v[68:69] op_sel:[0,0,1] op_sel_hi:[0,1,0]
	v_mov_b32_e32 v83, v21
	v_mov_b32_e32 v101, v39
	v_pk_add_f32 v[106:107], v[104:105], v[102:103] neg_lo:[0,1] neg_hi:[0,1]
	v_pk_mul_f32 v[80:81], v[34:35], v[4:5] op_sel:[1,0]
	v_pk_mul_f32 v[84:85], v[28:29], v[6:7] op_sel:[1,0]
	;; [unrolled: 1-line block ×3, first 2 shown]
	v_mov_b32_e32 v89, v23
	v_mov_b32_e32 v99, v37
	v_pk_add_f32 v[38:39], v[104:105], v[102:103]
	v_pk_add_f32 v[108:109], v[82:83], v[100:101] neg_lo:[0,1] neg_hi:[0,1]
	v_pk_mul_f32 v[20:21], v[106:107], s[12:13] op_sel:[1,0] op_sel_hi:[0,0]
	v_pk_fma_f32 v[92:93], v[34:35], v[4:5], v[80:81] op_sel:[0,0,1] op_sel_hi:[1,1,0] neg_lo:[0,0,1] neg_hi:[0,0,1]
	v_pk_fma_f32 v[34:35], v[34:35], v[4:5], v[80:81] op_sel:[0,0,1] op_sel_hi:[0,1,0]
	v_pk_fma_f32 v[94:95], v[28:29], v[6:7], v[84:85] op_sel:[0,0,1] op_sel_hi:[1,1,0] neg_lo:[0,0,1] neg_hi:[0,0,1]
	v_pk_fma_f32 v[28:29], v[28:29], v[6:7], v[84:85] op_sel:[0,0,1] op_sel_hi:[0,1,0]
	;; [unrolled: 2-line block ×3, first 2 shown]
	v_pk_add_f32 v[36:37], v[82:83], v[100:101]
	v_pk_add_f32 v[110:111], v[88:89], v[98:99] neg_lo:[0,1] neg_hi:[0,1]
	v_pk_mul_f32 v[22:23], v[108:109], s[28:29] op_sel:[1,0] op_sel_hi:[0,0]
	v_pk_fma_f32 v[84:85], v[38:39], s[0:1], v[20:21] op_sel_hi:[1,0,1]
	v_pk_fma_f32 v[86:87], v[38:39], s[0:1], v[20:21] op_sel_hi:[1,0,1] neg_lo:[0,0,1] neg_hi:[0,0,1]
	v_mov_b32_e32 v93, v35
	v_pk_add_f32 v[34:35], v[88:89], v[98:99]
	v_pk_mul_f32 v[26:27], v[110:111], s[18:19] op_sel:[1,0] op_sel_hi:[0,0]
	v_pk_fma_f32 v[76:77], v[36:37], s[14:15], v[22:23] op_sel_hi:[1,0,1]
	v_pk_fma_f32 v[80:81], v[36:37], s[14:15], v[22:23] op_sel_hi:[1,0,1] neg_lo:[0,0,1] neg_hi:[0,0,1]
	v_mov_b32_e32 v20, v84
	v_mov_b32_e32 v21, v87
	v_pk_fma_f32 v[72:73], v[34:35], s[16:17], v[26:27] op_sel_hi:[1,0,1]
	v_pk_fma_f32 v[74:75], v[34:35], s[16:17], v[26:27] op_sel_hi:[1,0,1] neg_lo:[0,0,1] neg_hi:[0,0,1]
	v_mov_b32_e32 v22, v76
	v_mov_b32_e32 v23, v81
	v_pk_add_f32 v[20:21], v[24:25], v[20:21]
	v_mov_b32_e32 v26, v72
	v_mov_b32_e32 v27, v75
	v_pk_add_f32 v[20:21], v[22:23], v[20:21]
	v_pk_mul_f32 v[22:23], v[106:107], s[36:37] op_sel:[1,0] op_sel_hi:[0,0]
	v_pk_add_f32 v[20:21], v[26:27], v[20:21]
	v_pk_fma_f32 v[114:115], v[38:39], s[16:17], v[22:23] op_sel_hi:[1,0,1]
	v_pk_fma_f32 v[116:117], v[38:39], s[16:17], v[22:23] op_sel_hi:[1,0,1] neg_lo:[0,0,1] neg_hi:[0,0,1]
	v_pk_mul_f32 v[26:27], v[108:109], s[26:27] op_sel:[1,0] op_sel_hi:[0,0]
	v_mov_b32_e32 v22, v114
	v_mov_b32_e32 v23, v117
	v_pk_fma_f32 v[118:119], v[36:37], s[22:23], v[26:27] op_sel_hi:[1,0,1]
	v_pk_fma_f32 v[120:121], v[36:37], s[22:23], v[26:27] op_sel_hi:[1,0,1] neg_lo:[0,0,1] neg_hi:[0,0,1]
	v_pk_mul_f32 v[78:79], v[32:33], v[10:11] op_sel:[1,0]
	v_pk_add_f32 v[22:23], v[24:25], v[22:23]
	v_mov_b32_e32 v26, v118
	v_mov_b32_e32 v27, v121
	v_pk_fma_f32 v[90:91], v[32:33], v[10:11], v[78:79] op_sel:[0,0,1] op_sel_hi:[1,1,0] neg_lo:[0,0,1] neg_hi:[0,0,1]
	v_pk_fma_f32 v[32:33], v[32:33], v[10:11], v[78:79] op_sel:[0,0,1] op_sel_hi:[0,1,0]
	v_pk_add_f32 v[22:23], v[26:27], v[22:23]
	v_pk_mul_f32 v[26:27], v[110:111], s[28:29] op_sel:[1,0] op_sel_hi:[0,0]
	v_mov_b32_e32 v91, v33
	v_mov_b32_e32 v97, v31
	v_pk_fma_f32 v[122:123], v[34:35], s[14:15], v[26:27] op_sel_hi:[1,0,1]
	v_pk_fma_f32 v[124:125], v[34:35], s[14:15], v[26:27] op_sel_hi:[1,0,1] neg_lo:[0,0,1] neg_hi:[0,0,1]
	v_pk_add_f32 v[112:113], v[90:91], v[96:97] neg_lo:[0,1] neg_hi:[0,1]
	v_mov_b32_e32 v26, v122
	v_mov_b32_e32 v27, v125
	v_pk_add_f32 v[32:33], v[90:91], v[96:97]
	v_pk_add_f32 v[22:23], v[26:27], v[22:23]
	v_pk_mul_f32 v[26:27], v[112:113], s[34:35] op_sel:[1,0] op_sel_hi:[0,0]
	v_mov_b32_e32 v95, v29
	v_pk_fma_f32 v[130:131], v[32:33], s[0:1], v[26:27] op_sel_hi:[1,0,1]
	v_pk_fma_f32 v[132:133], v[32:33], s[0:1], v[26:27] op_sel_hi:[1,0,1] neg_lo:[0,0,1] neg_hi:[0,0,1]
	v_mov_b32_e32 v26, v130
	v_mov_b32_e32 v27, v133
	v_pk_add_f32 v[140:141], v[92:93], v[94:95] neg_lo:[0,1] neg_hi:[0,1]
	v_pk_add_f32 v[22:23], v[26:27], v[22:23]
	v_pk_add_f32 v[66:67], v[92:93], v[94:95]
	v_pk_mul_f32 v[26:27], v[140:141], s[30:31] op_sel:[1,0] op_sel_hi:[0,0]
	v_pk_fma_f32 v[134:135], v[66:67], s[20:21], v[26:27] op_sel_hi:[1,0,1]
	v_pk_fma_f32 v[136:137], v[66:67], s[20:21], v[26:27] op_sel_hi:[1,0,1] neg_lo:[0,0,1] neg_hi:[0,0,1]
	v_pk_mul_f32 v[28:29], v[112:113], s[24:25] op_sel:[1,0] op_sel_hi:[0,0]
	v_mov_b32_e32 v26, v134
	v_mov_b32_e32 v27, v137
	v_pk_fma_f32 v[68:69], v[32:33], s[20:21], v[28:29] op_sel_hi:[1,0,1]
	v_pk_fma_f32 v[70:71], v[32:33], s[20:21], v[28:29] op_sel_hi:[1,0,1] neg_lo:[0,0,1] neg_hi:[0,0,1]
	v_pk_add_f32 v[22:23], v[26:27], v[22:23]
	v_pk_mul_f32 v[26:27], v[140:141], s[26:27] op_sel:[1,0] op_sel_hi:[0,0]
	v_mov_b32_e32 v28, v68
	v_mov_b32_e32 v29, v71
	v_pk_fma_f32 v[126:127], v[66:67], s[22:23], v[26:27] op_sel_hi:[1,0,1]
	v_pk_fma_f32 v[128:129], v[66:67], s[22:23], v[26:27] op_sel_hi:[1,0,1] neg_lo:[0,0,1] neg_hi:[0,0,1]
	v_pk_add_f32 v[20:21], v[28:29], v[20:21]
	v_mov_b32_e32 v26, v126
	v_mov_b32_e32 v27, v129
	v_pk_add_f32 v[20:21], v[26:27], v[20:21]
	v_pk_mul_f32 v[26:27], v[106:107], s[24:25] op_sel:[1,0] op_sel_hi:[0,0]
	v_pk_fma_f32 v[138:139], v[38:39], s[20:21], v[26:27] op_sel_hi:[1,0,1]
	v_pk_fma_f32 v[142:143], v[38:39], s[20:21], v[26:27] op_sel_hi:[1,0,1] neg_lo:[0,0,1] neg_hi:[0,0,1]
	v_pk_mul_f32 v[28:29], v[108:109], s[36:37] op_sel:[1,0] op_sel_hi:[0,0]
	v_mov_b32_e32 v26, v138
	v_mov_b32_e32 v27, v143
	v_pk_fma_f32 v[144:145], v[36:37], s[16:17], v[28:29] op_sel_hi:[1,0,1]
	v_pk_fma_f32 v[146:147], v[36:37], s[16:17], v[28:29] op_sel_hi:[1,0,1] neg_lo:[0,0,1] neg_hi:[0,0,1]
	v_pk_add_f32 v[26:27], v[24:25], v[26:27]
	v_mov_b32_e32 v28, v144
	v_mov_b32_e32 v29, v147
	v_pk_add_f32 v[26:27], v[28:29], v[26:27]
	v_pk_mul_f32 v[28:29], v[110:111], s[12:13] op_sel:[1,0] op_sel_hi:[0,0]
	v_pk_fma_f32 v[148:149], v[34:35], s[0:1], v[28:29] op_sel_hi:[1,0,1]
	v_pk_fma_f32 v[150:151], v[34:35], s[0:1], v[28:29] op_sel_hi:[1,0,1] neg_lo:[0,0,1] neg_hi:[0,0,1]
	v_mov_b32_e32 v28, v148
	v_mov_b32_e32 v29, v151
	v_pk_add_f32 v[26:27], v[28:29], v[26:27]
	v_pk_mul_f32 v[28:29], v[112:113], s[26:27] op_sel:[1,0] op_sel_hi:[0,0]
	v_pk_fma_f32 v[152:153], v[32:33], s[22:23], v[28:29] op_sel_hi:[1,0,1]
	v_pk_fma_f32 v[154:155], v[32:33], s[22:23], v[28:29] op_sel_hi:[1,0,1] neg_lo:[0,0,1] neg_hi:[0,0,1]
	v_mov_b32_e32 v28, v152
	v_mov_b32_e32 v29, v155
	s_mov_b32 s36, 0xbe903f40
	v_pk_add_f32 v[26:27], v[28:29], v[26:27]
	v_pk_mul_f32 v[28:29], v[140:141], s[36:37] op_sel:[1,0] op_sel_hi:[0,0]
	v_pk_fma_f32 v[156:157], v[66:67], s[14:15], v[28:29] op_sel_hi:[1,0,1]
	v_pk_fma_f32 v[158:159], v[66:67], s[14:15], v[28:29] op_sel_hi:[1,0,1] neg_lo:[0,0,1] neg_hi:[0,0,1]
	v_mov_b32_e32 v28, v156
	v_mov_b32_e32 v29, v159
	v_pk_add_f32 v[78:79], v[28:29], v[26:27]
	v_mov_b32_e32 v30, v58
	v_mov_b32_e32 v31, v58
	;; [unrolled: 1-line block ×9, first 2 shown]
	v_lshrrev_b32_e32 v84, 4, v160
	s_and_saveexec_b64 s[28:29], vcc
	s_cbranch_execz .LBB0_5
; %bb.4:
	v_pk_add_f32 v[104:105], v[24:25], v[104:105]
	v_mov_b32_e32 v143, v139
	v_pk_add_f32 v[82:83], v[104:105], v[82:83]
	v_mov_b32_e32 v147, v145
	v_pk_add_f32 v[82:83], v[82:83], v[88:89]
	v_pk_add_f32 v[88:89], v[24:25], v[142:143]
	;; [unrolled: 1-line block ×5, first 2 shown]
	v_mov_b32_e32 v151, v149
	v_pk_add_f32 v[82:83], v[82:83], v[94:95]
	v_mul_u32_u24_e32 v68, 0xb0, v84
	v_pk_add_f32 v[82:83], v[82:83], v[96:97]
	v_pk_add_f32 v[88:89], v[150:151], v[88:89]
	;; [unrolled: 1-line block ×3, first 2 shown]
	v_mov_b32_e32 v155, v153
	v_or_b32_e32 v68, v68, v178
	v_pk_add_f32 v[82:83], v[82:83], v[100:101]
	v_pk_add_f32 v[88:89], v[154:155], v[88:89]
	v_mov_b32_e32 v159, v157
	v_lshl_add_u32 v114, v68, 3, v161
	v_pk_add_f32 v[82:83], v[82:83], v[102:103]
	v_pk_add_f32 v[88:89], v[158:159], v[88:89]
	v_mov_b32_e32 v117, v115
	v_mov_b32_e32 v87, v85
	ds_write2_b64 v114, v[82:83], v[88:89] offset1:16
	v_pk_add_f32 v[82:83], v[24:25], v[116:117]
	v_mov_b32_e32 v121, v119
	v_pk_add_f32 v[86:87], v[24:25], v[86:87]
	v_mov_b32_e32 v81, v77
	;; [unrolled: 2-line block ×8, first 2 shown]
	v_mov_b32_e32 v180, v107
	v_mov_b32_e32 v181, v106
	v_pk_add_f32 v[82:83], v[136:137], v[82:83]
	v_pk_add_f32 v[68:69], v[128:129], v[68:69]
	v_mov_b32_e32 v106, v109
	v_mov_b32_e32 v107, v108
	ds_write2_b64 v114, v[82:83], v[68:69] offset0:32 offset1:48
	v_pk_mul_f32 v[68:69], v[180:181], s[26:27] op_sel_hi:[1,0]
	v_pk_mul_f32 v[74:75], v[106:107], s[34:35] op_sel_hi:[1,0]
	v_pk_fma_f32 v[70:71], v[38:39], s[22:23], v[68:69] op_sel_hi:[1,0,1] neg_lo:[0,0,1] neg_hi:[0,0,1]
	v_pk_fma_f32 v[68:69], v[38:39], s[22:23], v[68:69] op_sel_hi:[1,0,1]
	v_mov_b32_e32 v72, v70
	v_mov_b32_e32 v73, v69
	v_pk_fma_f32 v[76:77], v[36:37], s[0:1], v[74:75] op_sel_hi:[1,0,1] neg_lo:[0,0,1] neg_hi:[0,0,1]
	v_pk_fma_f32 v[74:75], v[36:37], s[0:1], v[74:75] op_sel_hi:[1,0,1]
	v_mov_b32_e32 v108, v111
	v_mov_b32_e32 v109, v110
	v_pk_add_f32 v[72:73], v[24:25], v[72:73]
	v_mov_b32_e32 v80, v76
	v_mov_b32_e32 v81, v75
	v_pk_add_f32 v[72:73], v[80:81], v[72:73]
	v_pk_mul_f32 v[80:81], v[108:109], s[24:25] op_sel_hi:[1,0]
	v_mov_b32_e32 v110, v113
	v_pk_fma_f32 v[82:83], v[34:35], s[20:21], v[80:81] op_sel_hi:[1,0,1] neg_lo:[0,0,1] neg_hi:[0,0,1]
	v_pk_fma_f32 v[80:81], v[34:35], s[20:21], v[80:81] op_sel_hi:[1,0,1]
	v_mov_b32_e32 v111, v112
	v_mov_b32_e32 v86, v82
	;; [unrolled: 1-line block ×3, first 2 shown]
	v_pk_add_f32 v[72:73], v[86:87], v[72:73]
	v_pk_mul_f32 v[86:87], v[110:111], s[36:37] op_sel_hi:[1,0]
	v_mov_b32_e32 v112, v141
	v_pk_fma_f32 v[88:89], v[32:33], s[14:15], v[86:87] op_sel_hi:[1,0,1] neg_lo:[0,0,1] neg_hi:[0,0,1]
	v_pk_fma_f32 v[86:87], v[32:33], s[14:15], v[86:87] op_sel_hi:[1,0,1]
	v_mov_b32_e32 v113, v140
	v_mov_b32_e32 v90, v88
	;; [unrolled: 1-line block ×3, first 2 shown]
	v_pk_add_f32 v[72:73], v[90:91], v[72:73]
	v_pk_mul_f32 v[90:91], v[112:113], s[18:19] op_sel_hi:[1,0]
	v_pk_mul_f32 v[96:97], v[106:107], s[30:31] op_sel_hi:[1,0]
	v_pk_fma_f32 v[92:93], v[66:67], s[16:17], v[90:91] op_sel_hi:[1,0,1] neg_lo:[0,0,1] neg_hi:[0,0,1]
	v_pk_fma_f32 v[90:91], v[66:67], s[16:17], v[90:91] op_sel_hi:[1,0,1]
	v_mov_b32_e32 v94, v92
	v_mov_b32_e32 v95, v91
	v_pk_add_f32 v[72:73], v[94:95], v[72:73]
	v_pk_mul_f32 v[94:95], v[180:181], s[36:37] op_sel_hi:[1,0]
	v_pk_fma_f32 v[106:107], v[36:37], s[20:21], v[96:97] op_sel_hi:[1,0,1] neg_lo:[0,0,1] neg_hi:[0,0,1]
	v_pk_fma_f32 v[104:105], v[38:39], s[14:15], v[94:95] op_sel_hi:[1,0,1] neg_lo:[0,0,1] neg_hi:[0,0,1]
	v_pk_fma_f32 v[38:39], v[38:39], s[14:15], v[94:95] op_sel_hi:[1,0,1]
	v_mov_b32_e32 v94, v104
	v_mov_b32_e32 v95, v39
	v_pk_fma_f32 v[36:37], v[36:37], s[20:21], v[96:97] op_sel_hi:[1,0,1]
	v_pk_mul_f32 v[98:99], v[108:109], s[26:27] op_sel_hi:[1,0]
	v_pk_add_f32 v[94:95], v[24:25], v[94:95]
	v_mov_b32_e32 v96, v106
	v_mov_b32_e32 v97, v37
	v_pk_add_f32 v[94:95], v[96:97], v[94:95]
	v_pk_fma_f32 v[96:97], v[34:35], s[22:23], v[98:99] op_sel_hi:[1,0,1] neg_lo:[0,0,1] neg_hi:[0,0,1]
	v_pk_fma_f32 v[34:35], v[34:35], s[22:23], v[98:99] op_sel_hi:[1,0,1]
	v_pk_mul_f32 v[100:101], v[110:111], s[18:19] op_sel_hi:[1,0]
	v_mov_b32_e32 v98, v96
	v_mov_b32_e32 v99, v35
	;; [unrolled: 1-line block ×4, first 2 shown]
	v_pk_add_f32 v[94:95], v[98:99], v[94:95]
	v_pk_fma_f32 v[98:99], v[32:33], s[16:17], v[100:101] op_sel_hi:[1,0,1] neg_lo:[0,0,1] neg_hi:[0,0,1]
	v_pk_fma_f32 v[32:33], v[32:33], s[16:17], v[100:101] op_sel_hi:[1,0,1]
	v_pk_add_f32 v[38:39], v[24:25], v[38:39]
	v_mov_b32_e32 v37, v107
	v_pk_add_f32 v[24:25], v[24:25], v[68:69]
	v_mov_b32_e32 v75, v77
	v_pk_mul_f32 v[102:103], v[112:113], s[12:13] op_sel_hi:[1,0]
	v_mov_b32_e32 v100, v98
	v_mov_b32_e32 v101, v33
	v_pk_add_f32 v[36:37], v[36:37], v[38:39]
	v_mov_b32_e32 v35, v97
	v_pk_add_f32 v[24:25], v[74:75], v[24:25]
	;; [unrolled: 2-line block ×3, first 2 shown]
	v_pk_fma_f32 v[100:101], v[66:67], s[0:1], v[102:103] op_sel_hi:[1,0,1] neg_lo:[0,0,1] neg_hi:[0,0,1]
	v_pk_fma_f32 v[66:67], v[66:67], s[0:1], v[102:103] op_sel_hi:[1,0,1]
	v_pk_add_f32 v[34:35], v[34:35], v[36:37]
	v_mov_b32_e32 v33, v99
	v_pk_add_f32 v[24:25], v[80:81], v[24:25]
	v_mov_b32_e32 v87, v89
	v_mov_b32_e32 v102, v100
	;; [unrolled: 1-line block ×3, first 2 shown]
	v_pk_add_f32 v[32:33], v[32:33], v[34:35]
	v_mov_b32_e32 v67, v101
	v_pk_add_f32 v[24:25], v[86:87], v[24:25]
	v_mov_b32_e32 v91, v93
	v_pk_add_f32 v[94:95], v[102:103], v[94:95]
	v_pk_add_f32 v[32:33], v[66:67], v[32:33]
	;; [unrolled: 1-line block ×3, first 2 shown]
	ds_write2_b64 v114, v[72:73], v[94:95] offset0:64 offset1:80
	ds_write2_b64 v114, v[32:33], v[24:25] offset0:96 offset1:112
	;; [unrolled: 1-line block ×3, first 2 shown]
	ds_write_b64 v114, v[78:79] offset:1280
.LBB0_5:
	s_or_b64 exec, exec, s[28:29]
	s_waitcnt lgkmcnt(0)
	s_barrier
	global_load_dwordx2 v[66:67], v62, s[10:11] offset:1392
	global_load_dwordx2 v[68:69], v62, s[10:11] offset:2096
	v_add_u32_e32 v106, 0x800, v47
	ds_read2_b64 v[32:35], v47 offset1:88
	v_add_u32_e32 v107, 0x400, v47
	v_add_u32_e32 v108, 0x1000, v47
	ds_read2_b64 v[36:39], v106 offset0:96 offset1:184
	ds_read2_b64 v[70:73], v107 offset0:48 offset1:136
	;; [unrolled: 1-line block ×3, first 2 shown]
	v_lshl_add_u64 v[24:25], s[10:11], 0, v[62:63]
	s_movk_i32 s12, 0x1000
	v_add_co_u32_e64 v24, s[0:1], s12, v24
	s_waitcnt lgkmcnt(0)
	s_barrier
	v_addc_co_u32_e64 v25, s[0:1], 0, v25, s[0:1]
	s_mov_b64 s[0:1], 0x1600
	v_lshl_add_u32 v85, v179, 3, v62
	v_add_u32_e32 v102, 0x1000, v85
	s_waitcnt vmcnt(1)
	v_pk_mul_f32 v[80:81], v[36:37], v[66:67] op_sel:[0,1]
	s_waitcnt vmcnt(0)
	v_pk_mul_f32 v[82:83], v[38:39], v[68:69] op_sel:[0,1]
	v_pk_mul_f32 v[86:87], v[76:77], v[68:69] op_sel:[0,1]
	;; [unrolled: 1-line block ×3, first 2 shown]
	v_pk_fma_f32 v[90:91], v[36:37], v[66:67], v[80:81] op_sel:[0,0,1] op_sel_hi:[1,1,0] neg_lo:[0,0,1] neg_hi:[0,0,1]
	v_pk_fma_f32 v[36:37], v[36:37], v[66:67], v[80:81] op_sel:[0,0,1] op_sel_hi:[1,0,0]
	v_pk_fma_f32 v[80:81], v[38:39], v[68:69], v[82:83] op_sel:[0,0,1] op_sel_hi:[1,1,0] neg_lo:[0,0,1] neg_hi:[0,0,1]
	v_pk_fma_f32 v[38:39], v[38:39], v[68:69], v[82:83] op_sel:[0,0,1] op_sel_hi:[1,0,0]
	;; [unrolled: 2-line block ×4, first 2 shown]
	v_mov_b32_e32 v91, v37
	v_mov_b32_e32 v81, v39
	;; [unrolled: 1-line block ×4, first 2 shown]
	v_pk_add_f32 v[36:37], v[32:33], v[90:91] neg_lo:[0,1] neg_hi:[0,1]
	v_pk_add_f32 v[38:39], v[34:35], v[80:81] neg_lo:[0,1] neg_hi:[0,1]
	;; [unrolled: 1-line block ×4, first 2 shown]
	v_pk_fma_f32 v[32:33], v[32:33], 2.0, v[36:37] op_sel_hi:[1,0,1] neg_lo:[0,0,1] neg_hi:[0,0,1]
	v_pk_fma_f32 v[34:35], v[34:35], 2.0, v[38:39] op_sel_hi:[1,0,1] neg_lo:[0,0,1] neg_hi:[0,0,1]
	ds_write2_b64 v107, v[36:37], v[38:39] offset0:48 offset1:136
	v_pk_fma_f32 v[36:37], v[70:71], 2.0, v[76:77] op_sel_hi:[1,0,1] neg_lo:[0,0,1] neg_hi:[0,0,1]
	v_pk_fma_f32 v[38:39], v[72:73], 2.0, v[74:75] op_sel_hi:[1,0,1] neg_lo:[0,0,1] neg_hi:[0,0,1]
	ds_write2_b64 v108, v[76:77], v[74:75] offset0:16 offset1:104
	ds_write2_b64 v47, v[32:33], v[34:35] offset1:88
	ds_write2_b64 v106, v[36:37], v[38:39] offset0:96 offset1:184
	s_waitcnt lgkmcnt(0)
	s_barrier
	global_load_dwordx2 v[76:77], v62, s[10:11] offset:2800
	global_load_dwordx2 v[74:75], v62, s[10:11] offset:3504
	global_load_dwordx2 v[72:73], v[24:25], off offset:112
	global_load_dwordx2 v[70:71], v[24:25], off offset:816
	ds_read2_b64 v[32:35], v106 offset0:96 offset1:184
	ds_read2_b64 v[36:39], v108 offset0:16 offset1:104
	ds_read2_b64 v[80:83], v47 offset1:88
	ds_read2_b64 v[86:89], v107 offset0:48 offset1:136
	v_lshl_add_u64 v[24:25], s[8:9], 0, v[62:63]
	v_lshl_add_u64 v[62:63], v[24:25], 0, s[0:1]
	v_add_co_u32_e64 v90, s[0:1], s12, v24
	s_movk_i32 s8, 0x2000
	s_nop 0
	v_addc_co_u32_e64 v91, s[0:1], 0, v25, s[0:1]
	v_add_co_u32_e64 v24, s[0:1], s8, v24
	s_waitcnt vmcnt(3) lgkmcnt(3)
	v_pk_mul_f32 v[92:93], v[32:33], v[76:77] op_sel:[0,1]
	s_waitcnt vmcnt(2)
	v_pk_mul_f32 v[94:95], v[34:35], v[74:75] op_sel:[0,1]
	s_waitcnt vmcnt(1) lgkmcnt(2)
	v_pk_mul_f32 v[96:97], v[36:37], v[72:73] op_sel:[0,1]
	s_waitcnt vmcnt(0)
	v_pk_mul_f32 v[98:99], v[38:39], v[70:71] op_sel:[0,1]
	v_pk_fma_f32 v[100:101], v[32:33], v[76:77], v[92:93] op_sel:[0,0,1] op_sel_hi:[1,1,0] neg_lo:[0,0,1] neg_hi:[0,0,1]
	v_pk_fma_f32 v[32:33], v[32:33], v[76:77], v[92:93] op_sel:[0,0,1] op_sel_hi:[1,0,0]
	v_pk_fma_f32 v[92:93], v[34:35], v[74:75], v[94:95] op_sel:[0,0,1] op_sel_hi:[1,1,0] neg_lo:[0,0,1] neg_hi:[0,0,1]
	v_pk_fma_f32 v[34:35], v[34:35], v[74:75], v[94:95] op_sel:[0,0,1] op_sel_hi:[1,0,0]
	;; [unrolled: 2-line block ×4, first 2 shown]
	v_mov_b32_e32 v101, v33
	v_mov_b32_e32 v93, v35
	;; [unrolled: 1-line block ×4, first 2 shown]
	s_waitcnt lgkmcnt(1)
	v_pk_add_f32 v[32:33], v[80:81], v[100:101] neg_lo:[0,1] neg_hi:[0,1]
	v_pk_add_f32 v[34:35], v[82:83], v[92:93] neg_lo:[0,1] neg_hi:[0,1]
	s_waitcnt lgkmcnt(0)
	v_pk_add_f32 v[36:37], v[86:87], v[94:95] neg_lo:[0,1] neg_hi:[0,1]
	v_pk_add_f32 v[38:39], v[88:89], v[96:97] neg_lo:[0,1] neg_hi:[0,1]
	v_pk_fma_f32 v[80:81], v[80:81], 2.0, v[32:33] op_sel_hi:[1,0,1] neg_lo:[0,0,1] neg_hi:[0,0,1]
	v_pk_fma_f32 v[82:83], v[82:83], 2.0, v[34:35] op_sel_hi:[1,0,1] neg_lo:[0,0,1] neg_hi:[0,0,1]
	;; [unrolled: 1-line block ×4, first 2 shown]
	ds_write_b64 v47, v[32:33] offset:2816
	ds_write2_b64 v47, v[80:81], v[82:83] offset1:88
	ds_write_b64 v47, v[34:35] offset:3520
	ds_write2_b64 v107, v[86:87], v[88:89] offset0:48 offset1:136
	ds_write2_b64 v102, v[36:37], v[38:39] offset0:16 offset1:104
	s_waitcnt lgkmcnt(0)
	s_barrier
	global_load_dwordx2 v[90:91], v[90:91], off offset:1536
	v_addc_co_u32_e64 v25, s[0:1], 0, v25, s[0:1]
	global_load_dwordx2 v[92:93], v[62:63], off offset:2816
	global_load_dwordx2 v[94:95], v[62:63], off offset:704
	;; [unrolled: 1-line block ×7, first 2 shown]
	ds_read2_b64 v[32:35], v47 offset1:88
	ds_read2_b64 v[36:39], v106 offset0:96 offset1:184
	ds_read2_b64 v[80:83], v107 offset0:48 offset1:136
	;; [unrolled: 1-line block ×3, first 2 shown]
	s_waitcnt vmcnt(6) lgkmcnt(2)
	v_mul_f32_e32 v62, v37, v93
	s_waitcnt vmcnt(5)
	v_mul_f32_e32 v109, v35, v95
	v_mul_f32_e32 v63, v36, v93
	;; [unrolled: 1-line block ×5, first 2 shown]
	s_waitcnt vmcnt(2)
	v_mul_f32_e32 v110, v39, v101
	v_mul_f32_e32 v93, v38, v101
	s_waitcnt vmcnt(1) lgkmcnt(1)
	v_mul_f32_e32 v111, v81, v103
	v_mul_f32_e32 v95, v80, v103
	s_waitcnt lgkmcnt(0)
	v_mul_f32_e32 v112, v87, v97
	v_mul_f32_e32 v101, v86, v97
	s_waitcnt vmcnt(0)
	v_mul_f32_e32 v113, v83, v105
	v_mul_f32_e32 v97, v82, v105
	;; [unrolled: 1-line block ×4, first 2 shown]
	v_fma_f32 v24, v32, v90, -v24
	v_fmac_f32_e32 v25, v33, v90
	v_fma_f32 v90, v34, v94, -v109
	v_fmac_f32_e32 v91, v35, v94
	;; [unrolled: 2-line block ×8, first 2 shown]
	ds_write2_b64 v47, v[24:25], v[90:91] offset1:88
	ds_write2_b64 v106, v[62:63], v[92:93] offset0:96 offset1:184
	ds_write2_b64 v107, v[94:95], v[96:97] offset0:48 offset1:136
	;; [unrolled: 1-line block ×3, first 2 shown]
	s_waitcnt lgkmcnt(0)
	s_barrier
	ds_read2_b64 v[32:35], v47 offset1:88
	ds_read2_b64 v[36:39], v106 offset0:96 offset1:184
	ds_read2_b64 v[80:83], v107 offset0:48 offset1:136
	;; [unrolled: 1-line block ×3, first 2 shown]
	s_waitcnt lgkmcnt(0)
	s_barrier
	v_pk_add_f32 v[90:91], v[32:33], v[36:37] neg_lo:[0,1] neg_hi:[0,1]
	v_pk_add_f32 v[36:37], v[34:35], v[38:39] neg_lo:[0,1] neg_hi:[0,1]
	;; [unrolled: 1-line block ×4, first 2 shown]
	v_pk_fma_f32 v[88:89], v[32:33], 2.0, v[90:91] op_sel_hi:[1,0,1] neg_lo:[0,0,1] neg_hi:[0,0,1]
	v_pk_fma_f32 v[34:35], v[34:35], 2.0, v[36:37] op_sel_hi:[1,0,1] neg_lo:[0,0,1] neg_hi:[0,0,1]
	;; [unrolled: 1-line block ×4, first 2 shown]
	ds_write_b128 v162, v[88:91]
	ds_write_b128 v163, v[34:37]
	;; [unrolled: 1-line block ×4, first 2 shown]
	s_waitcnt lgkmcnt(0)
	s_barrier
	ds_read2_b64 v[32:35], v107 offset0:48 offset1:136
	ds_read2_b64 v[36:39], v108 offset0:16 offset1:104
	ds_read2_b64 v[80:83], v47 offset1:88
	ds_read2_b64 v[86:89], v106 offset0:96 offset1:184
	s_waitcnt lgkmcnt(0)
	s_barrier
	v_pk_mul_f32 v[24:25], v[58:59], v[38:39]
	v_pk_mul_f32 v[62:63], v[58:59], v[36:37]
	v_pk_mul_f32 v[90:91], v[58:59], v[88:89]
	v_pk_mul_f32 v[58:59], v[58:59], v[86:87]
	v_pk_fma_f32 v[92:93], v[30:31], v[38:39], v[24:25] op_sel:[0,0,1] op_sel_hi:[1,1,0]
	v_pk_fma_f32 v[24:25], v[30:31], v[38:39], v[24:25] op_sel:[0,0,1] op_sel_hi:[1,1,0] neg_lo:[0,0,1] neg_hi:[0,0,1]
	v_pk_fma_f32 v[38:39], v[30:31], v[36:37], v[62:63] op_sel:[0,0,1] op_sel_hi:[1,1,0]
	v_pk_fma_f32 v[36:37], v[30:31], v[36:37], v[62:63] op_sel:[0,0,1] op_sel_hi:[1,1,0] neg_lo:[0,0,1] neg_hi:[0,0,1]
	;; [unrolled: 2-line block ×4, first 2 shown]
	v_mov_b32_e32 v93, v25
	v_mov_b32_e32 v39, v37
	;; [unrolled: 1-line block ×4, first 2 shown]
	v_pk_add_f32 v[24:25], v[34:35], v[92:93] neg_lo:[0,1] neg_hi:[0,1]
	v_pk_add_f32 v[30:31], v[32:33], v[38:39] neg_lo:[0,1] neg_hi:[0,1]
	;; [unrolled: 1-line block ×4, first 2 shown]
	v_pk_fma_f32 v[34:35], v[34:35], 2.0, v[24:25] op_sel_hi:[1,0,1] neg_lo:[0,0,1] neg_hi:[0,0,1]
	v_pk_fma_f32 v[32:33], v[32:33], 2.0, v[30:31] op_sel_hi:[1,0,1] neg_lo:[0,0,1] neg_hi:[0,0,1]
	;; [unrolled: 1-line block ×4, first 2 shown]
	ds_write2_b64 v166, v[62:63], v[38:39] offset1:2
	ds_write2_b64 v167, v[58:59], v[36:37] offset1:2
	;; [unrolled: 1-line block ×4, first 2 shown]
	s_waitcnt lgkmcnt(0)
	s_barrier
	ds_read2_b64 v[30:33], v107 offset0:48 offset1:136
	ds_read2_b64 v[34:37], v108 offset0:16 offset1:104
	ds_read2_b64 v[80:83], v47 offset1:88
	ds_read2_b64 v[86:89], v106 offset0:96 offset1:184
	s_waitcnt lgkmcnt(0)
	s_barrier
	v_pk_mul_f32 v[24:25], v[60:61], v[36:37]
	v_pk_mul_f32 v[38:39], v[60:61], v[34:35]
	;; [unrolled: 1-line block ×4, first 2 shown]
	v_pk_fma_f32 v[62:63], v[28:29], v[36:37], v[24:25] op_sel:[0,0,1] op_sel_hi:[1,1,0]
	v_pk_fma_f32 v[24:25], v[28:29], v[36:37], v[24:25] op_sel:[0,0,1] op_sel_hi:[1,1,0] neg_lo:[0,0,1] neg_hi:[0,0,1]
	v_pk_fma_f32 v[36:37], v[28:29], v[34:35], v[38:39] op_sel:[0,0,1] op_sel_hi:[1,1,0]
	v_pk_fma_f32 v[34:35], v[28:29], v[34:35], v[38:39] op_sel:[0,0,1] op_sel_hi:[1,1,0] neg_lo:[0,0,1] neg_hi:[0,0,1]
	v_pk_fma_f32 v[38:39], v[28:29], v[88:89], v[58:59] op_sel:[0,0,1] op_sel_hi:[1,1,0]
	v_pk_fma_f32 v[58:59], v[28:29], v[88:89], v[58:59] op_sel:[0,0,1] op_sel_hi:[1,1,0] neg_lo:[0,0,1] neg_hi:[0,0,1]
	v_pk_fma_f32 v[88:89], v[28:29], v[86:87], v[60:61] op_sel:[0,0,1] op_sel_hi:[1,1,0]
	v_pk_fma_f32 v[28:29], v[28:29], v[86:87], v[60:61] op_sel:[0,0,1] op_sel_hi:[1,1,0] neg_lo:[0,0,1] neg_hi:[0,0,1]
	v_mov_b32_e32 v63, v25
	v_mov_b32_e32 v37, v35
	;; [unrolled: 1-line block ×4, first 2 shown]
	v_pk_add_f32 v[24:25], v[32:33], v[62:63] neg_lo:[0,1] neg_hi:[0,1]
	v_pk_add_f32 v[28:29], v[30:31], v[36:37] neg_lo:[0,1] neg_hi:[0,1]
	v_pk_add_f32 v[36:37], v[80:81], v[88:89] neg_lo:[0,1] neg_hi:[0,1]
	v_pk_add_f32 v[34:35], v[82:83], v[38:39] neg_lo:[0,1] neg_hi:[0,1]
	v_pk_fma_f32 v[32:33], v[32:33], 2.0, v[24:25] op_sel_hi:[1,0,1] neg_lo:[0,0,1] neg_hi:[0,0,1]
	v_pk_fma_f32 v[30:31], v[30:31], 2.0, v[28:29] op_sel_hi:[1,0,1] neg_lo:[0,0,1] neg_hi:[0,0,1]
	;; [unrolled: 1-line block ×4, first 2 shown]
	ds_write2_b64 v170, v[58:59], v[36:37] offset1:4
	ds_write2_b64 v171, v[38:39], v[34:35] offset1:4
	;; [unrolled: 1-line block ×4, first 2 shown]
	s_waitcnt lgkmcnt(0)
	s_barrier
	ds_read2_b64 v[58:61], v47 offset1:88
	ds_read2_b64 v[28:31], v106 offset0:96 offset1:184
	ds_read2_b64 v[80:83], v107 offset0:48 offset1:136
	;; [unrolled: 1-line block ×3, first 2 shown]
	s_waitcnt lgkmcnt(0)
	s_barrier
	v_pk_mul_f32 v[24:25], v[64:65], v[28:29]
	v_pk_mul_f32 v[36:37], v[64:65], v[30:31]
	;; [unrolled: 1-line block ×4, first 2 shown]
	v_pk_fma_f32 v[64:65], v[26:27], v[28:29], v[24:25] op_sel:[0,0,1] op_sel_hi:[1,1,0]
	v_pk_fma_f32 v[24:25], v[26:27], v[28:29], v[24:25] op_sel:[0,0,1] op_sel_hi:[1,1,0] neg_lo:[0,0,1] neg_hi:[0,0,1]
	v_pk_fma_f32 v[28:29], v[26:27], v[30:31], v[36:37] op_sel:[0,0,1] op_sel_hi:[1,1,0]
	v_pk_fma_f32 v[30:31], v[26:27], v[30:31], v[36:37] op_sel:[0,0,1] op_sel_hi:[1,1,0] neg_lo:[0,0,1] neg_hi:[0,0,1]
	;; [unrolled: 2-line block ×4, first 2 shown]
	v_mov_b32_e32 v65, v25
	v_mov_b32_e32 v29, v31
	;; [unrolled: 1-line block ×4, first 2 shown]
	v_pk_add_f32 v[26:27], v[58:59], v[64:65] neg_lo:[0,1] neg_hi:[0,1]
	v_pk_add_f32 v[38:39], v[60:61], v[28:29] neg_lo:[0,1] neg_hi:[0,1]
	;; [unrolled: 1-line block ×4, first 2 shown]
	v_pk_fma_f32 v[36:37], v[60:61], 2.0, v[38:39] op_sel_hi:[1,0,1] neg_lo:[0,0,1] neg_hi:[0,0,1]
	v_pk_fma_f32 v[28:29], v[80:81], 2.0, v[30:31] op_sel_hi:[1,0,1] neg_lo:[0,0,1] neg_hi:[0,0,1]
	;; [unrolled: 1-line block ×4, first 2 shown]
	ds_write2_b64 v174, v[24:25], v[26:27] offset1:8
	ds_write2_b64 v175, v[36:37], v[38:39] offset1:8
	;; [unrolled: 1-line block ×4, first 2 shown]
	s_waitcnt lgkmcnt(0)
	s_barrier
	s_and_saveexec_b64 s[0:1], vcc
	s_cbranch_execz .LBB0_7
; %bb.6:
	ds_read2st64_b64 v[24:27], v47 offset1:1
	ds_read2st64_b64 v[36:39], v47 offset0:2 offset1:3
	ds_read2st64_b64 v[28:31], v47 offset0:4 offset1:5
	;; [unrolled: 1-line block ×4, first 2 shown]
	ds_read_b64 v[78:79], v47 offset:5120
.LBB0_7:
	s_or_b64 exec, exec, s[0:1]
	v_mov_b32_e32 v80, v66
	v_mov_b32_e32 v81, v66
	;; [unrolled: 1-line block ×15, first 2 shown]
	v_add_u32_e32 v86, 0x580, v85
	v_mov_b32_e32 v58, v70
	v_mov_b32_e32 v59, v70
	v_mov_b32_e32 v70, v71
	v_add_u32_e32 v85, 0x840, v85
	s_waitcnt lgkmcnt(0)
	s_barrier
	s_and_saveexec_b64 s[0:1], vcc
	s_cbranch_execz .LBB0_9
; %bb.8:
	v_pk_mul_f32 v[90:91], v[18:19], v[78:79] op_sel:[0,1]
	v_pk_mul_f32 v[94:95], v[16:17], v[22:23] op_sel:[0,1]
	v_pk_fma_f32 v[108:109], v[18:19], v[78:79], v[90:91] op_sel:[0,0,1] op_sel_hi:[1,1,0]
	v_pk_fma_f32 v[18:19], v[18:19], v[78:79], v[90:91] op_sel:[0,0,1] op_sel_hi:[1,0,0] neg_lo:[1,0,0] neg_hi:[1,0,0]
	v_pk_mul_f32 v[92:93], v[2:3], v[36:37] op_sel:[0,1]
	v_mov_b32_e32 v109, v19
	v_pk_fma_f32 v[18:19], v[16:17], v[22:23], v[94:95] op_sel:[0,0,1] op_sel_hi:[1,1,0]
	v_pk_fma_f32 v[16:17], v[16:17], v[22:23], v[94:95] op_sel:[0,0,1] op_sel_hi:[1,0,0] neg_lo:[1,0,0] neg_hi:[1,0,0]
	v_pk_mul_f32 v[98:99], v[14:15], v[20:21] op_sel:[0,1]
	v_mov_b32_e32 v19, v17
	;; [unrolled: 4-line block ×8, first 2 shown]
	v_pk_fma_f32 v[6:7], v[4:5], v[30:31], v[104:105] op_sel:[0,0,1] op_sel_hi:[1,1,0]
	v_pk_fma_f32 v[4:5], v[4:5], v[30:31], v[104:105] op_sel:[0,0,1] op_sel_hi:[1,0,0] neg_lo:[1,0,0] neg_hi:[1,0,0]
	s_mov_b32 s18, 0xbf0a6770
	v_mov_b32_e32 v7, v5
	v_pk_fma_f32 v[4:5], v[0:1], v[26:27], v[88:89] op_sel:[0,0,1] op_sel_hi:[1,1,0]
	v_pk_fma_f32 v[0:1], v[0:1], v[26:27], v[88:89] op_sel:[0,0,1] op_sel_hi:[1,0,0] neg_lo:[1,0,0] neg_hi:[1,0,0]
	v_pk_add_f32 v[22:23], v[16:17], v[18:19] neg_lo:[0,1] neg_hi:[0,1]
	v_mov_b32_e32 v5, v1
	v_pk_add_f32 v[0:1], v[4:5], v[108:109] neg_lo:[0,1] neg_hi:[0,1]
	v_pk_add_f32 v[20:21], v[108:109], v[4:5]
	s_mov_b32 s8, 0x3f575c64
	v_pk_mul_f32 v[78:79], v[0:1], s[18:19] op_sel_hi:[1,0]
	s_mov_b32 s26, 0xbf68dda4
	v_pk_add_f32 v[26:27], v[18:19], v[16:17]
	v_pk_fma_f32 v[88:89], v[20:21], s[8:9], v[78:79] op_sel:[0,0,1] op_sel_hi:[1,0,0]
	v_pk_fma_f32 v[78:79], v[20:21], s[8:9], v[78:79] op_sel:[0,0,1] op_sel_hi:[1,0,0] neg_lo:[0,0,1] neg_hi:[0,0,1]
	s_mov_b32 s10, 0x3ed4b147
	v_pk_mul_f32 v[92:93], v[22:23], s[26:27] op_sel_hi:[1,0]
	v_mov_b32_e32 v90, v88
	v_mov_b32_e32 v91, v79
	v_pk_fma_f32 v[94:95], v[26:27], s[10:11], v[92:93] op_sel:[0,0,1] op_sel_hi:[1,0,0]
	v_pk_fma_f32 v[92:93], v[26:27], s[10:11], v[92:93] op_sel:[0,0,1] op_sel_hi:[1,0,0] neg_lo:[0,0,1] neg_hi:[0,0,1]
	v_pk_add_f32 v[28:29], v[14:15], v[2:3] neg_lo:[0,1] neg_hi:[0,1]
	v_pk_add_f32 v[90:91], v[24:25], v[90:91]
	v_mov_b32_e32 v96, v94
	v_mov_b32_e32 v97, v93
	s_mov_b32 s16, 0xbf7d64f0
	v_pk_add_f32 v[30:31], v[2:3], v[14:15]
	v_pk_add_f32 v[90:91], v[96:97], v[90:91]
	s_mov_b32 s12, 0xbe11bafb
	v_pk_mul_f32 v[96:97], v[28:29], s[16:17] op_sel_hi:[1,0]
	v_pk_add_f32 v[4:5], v[24:25], v[4:5]
	v_pk_fma_f32 v[98:99], v[30:31], s[12:13], v[96:97] op_sel:[0,0,1] op_sel_hi:[1,0,0]
	v_pk_fma_f32 v[96:97], v[30:31], s[12:13], v[96:97] op_sel:[0,0,1] op_sel_hi:[1,0,0] neg_lo:[0,0,1] neg_hi:[0,0,1]
	v_pk_add_f32 v[4:5], v[16:17], v[4:5]
	v_pk_add_f32 v[32:33], v[12:13], v[8:9] neg_lo:[0,1] neg_hi:[0,1]
	v_mov_b32_e32 v100, v98
	v_mov_b32_e32 v101, v97
	s_mov_b32 s20, 0xbf4178ce
	v_pk_add_f32 v[4:5], v[14:15], v[4:5]
	v_pk_add_f32 v[34:35], v[8:9], v[12:13]
	v_pk_add_f32 v[90:91], v[100:101], v[90:91]
	s_mov_b32 s14, 0xbf27a4f4
	v_pk_mul_f32 v[100:101], v[32:33], s[20:21] op_sel_hi:[1,0]
	v_pk_add_f32 v[4:5], v[12:13], v[4:5]
	v_pk_fma_f32 v[102:103], v[34:35], s[14:15], v[100:101] op_sel:[0,0,1] op_sel_hi:[1,0,0]
	v_pk_fma_f32 v[100:101], v[34:35], s[14:15], v[100:101] op_sel:[0,0,1] op_sel_hi:[1,0,0] neg_lo:[0,0,1] neg_hi:[0,0,1]
	v_pk_add_f32 v[4:5], v[6:7], v[4:5]
	v_pk_add_f32 v[36:37], v[6:7], v[10:11] neg_lo:[0,1] neg_hi:[0,1]
	v_mov_b32_e32 v104, v102
	v_mov_b32_e32 v105, v101
	s_mov_b32 s24, 0xbe903f40
	v_pk_add_f32 v[4:5], v[10:11], v[4:5]
	v_pk_add_f32 v[38:39], v[10:11], v[6:7]
	;; [unrolled: 1-line block ×3, first 2 shown]
	s_mov_b32 s22, 0xbf75a155
	v_pk_mul_f32 v[104:105], v[36:37], s[24:25] op_sel_hi:[1,0]
	v_pk_add_f32 v[4:5], v[8:9], v[4:5]
	v_mul_u32_u24_e32 v84, 0xb0, v84
	v_pk_fma_f32 v[106:107], v[38:39], s[22:23], v[104:105] op_sel:[0,0,1] op_sel_hi:[1,0,0]
	v_pk_fma_f32 v[104:105], v[38:39], s[22:23], v[104:105] op_sel:[0,0,1] op_sel_hi:[1,0,0] neg_lo:[0,0,1] neg_hi:[0,0,1]
	v_pk_add_f32 v[2:3], v[2:3], v[4:5]
	v_or_b32_e32 v84, v84, v178
	v_mov_b32_e32 v110, v106
	v_mov_b32_e32 v111, v105
	v_pk_add_f32 v[2:3], v[18:19], v[2:3]
	v_lshl_add_u32 v84, v84, 3, v161
	v_pk_add_f32 v[90:91], v[110:111], v[90:91]
	v_pk_add_f32 v[2:3], v[108:109], v[2:3]
	ds_write2_b64 v84, v[2:3], v[90:91] offset1:16
	v_pk_mul_f32 v[2:3], v[0:1], s[26:27] op_sel_hi:[1,0]
	v_pk_mul_f32 v[8:9], v[22:23], s[20:21] op_sel_hi:[1,0]
	v_pk_fma_f32 v[4:5], v[20:21], s[10:11], v[2:3] op_sel:[0,0,1] op_sel_hi:[1,0,0]
	v_pk_fma_f32 v[2:3], v[20:21], s[10:11], v[2:3] op_sel:[0,0,1] op_sel_hi:[1,0,0] neg_lo:[0,0,1] neg_hi:[0,0,1]
	v_mov_b32_e32 v6, v4
	v_mov_b32_e32 v7, v3
	v_pk_fma_f32 v[10:11], v[26:27], s[14:15], v[8:9] op_sel:[0,0,1] op_sel_hi:[1,0,0]
	v_pk_fma_f32 v[8:9], v[26:27], s[14:15], v[8:9] op_sel:[0,0,1] op_sel_hi:[1,0,0] neg_lo:[0,0,1] neg_hi:[0,0,1]
	v_pk_add_f32 v[6:7], v[24:25], v[6:7]
	v_mov_b32_e32 v12, v10
	v_mov_b32_e32 v13, v9
	s_mov_b32 s26, 0x3e903f40
	v_pk_add_f32 v[6:7], v[12:13], v[6:7]
	v_pk_mul_f32 v[12:13], v[28:29], s[26:27] op_sel_hi:[1,0]
	s_mov_b32 s28, 0x3f7d64f0
	v_pk_fma_f32 v[14:15], v[30:31], s[22:23], v[12:13] op_sel:[0,0,1] op_sel_hi:[1,0,0]
	v_pk_fma_f32 v[12:13], v[30:31], s[22:23], v[12:13] op_sel:[0,0,1] op_sel_hi:[1,0,0] neg_lo:[0,0,1] neg_hi:[0,0,1]
	v_mov_b32_e32 v16, v14
	v_mov_b32_e32 v17, v13
	v_pk_add_f32 v[6:7], v[16:17], v[6:7]
	v_pk_mul_f32 v[16:17], v[32:33], s[28:29] op_sel_hi:[1,0]
	v_pk_mul_f32 v[116:117], v[22:23], s[26:27] op_sel_hi:[1,0]
	v_pk_fma_f32 v[18:19], v[34:35], s[12:13], v[16:17] op_sel:[0,0,1] op_sel_hi:[1,0,0]
	v_pk_fma_f32 v[16:17], v[34:35], s[12:13], v[16:17] op_sel:[0,0,1] op_sel_hi:[1,0,0] neg_lo:[0,0,1] neg_hi:[0,0,1]
	v_mov_b32_e32 v90, v18
	v_mov_b32_e32 v91, v17
	v_pk_add_f32 v[6:7], v[90:91], v[6:7]
	v_pk_mul_f32 v[90:91], v[36:37], s[30:31] op_sel_hi:[1,0]
	v_pk_fma_f32 v[118:119], v[26:27], s[22:23], v[116:117] op_sel:[0,0,1] op_sel_hi:[1,0,0]
	v_pk_fma_f32 v[108:109], v[38:39], s[8:9], v[90:91] op_sel:[0,0,1] op_sel_hi:[1,0,0]
	v_pk_fma_f32 v[90:91], v[38:39], s[8:9], v[90:91] op_sel:[0,0,1] op_sel_hi:[1,0,0] neg_lo:[0,0,1] neg_hi:[0,0,1]
	v_mov_b32_e32 v110, v108
	v_mov_b32_e32 v111, v91
	v_pk_add_f32 v[6:7], v[110:111], v[6:7]
	v_pk_mul_f32 v[110:111], v[0:1], s[16:17] op_sel_hi:[1,0]
	v_pk_fma_f32 v[116:117], v[26:27], s[22:23], v[116:117] op_sel:[0,0,1] op_sel_hi:[1,0,0] neg_lo:[0,0,1] neg_hi:[0,0,1]
	v_pk_fma_f32 v[112:113], v[20:21], s[12:13], v[110:111] op_sel:[0,0,1] op_sel_hi:[1,0,0]
	v_pk_fma_f32 v[110:111], v[20:21], s[12:13], v[110:111] op_sel:[0,0,1] op_sel_hi:[1,0,0] neg_lo:[0,0,1] neg_hi:[0,0,1]
	v_mov_b32_e32 v114, v112
	v_mov_b32_e32 v115, v111
	v_pk_add_f32 v[114:115], v[24:25], v[114:115]
	v_mov_b32_e32 v120, v118
	v_mov_b32_e32 v121, v117
	s_mov_b32 s26, 0x3f68dda4
	v_pk_add_f32 v[114:115], v[120:121], v[114:115]
	v_pk_mul_f32 v[120:121], v[28:29], s[26:27] op_sel_hi:[1,0]
	v_pk_mul_f32 v[134:135], v[22:23], s[28:29] op_sel_hi:[1,0]
	v_pk_fma_f32 v[122:123], v[30:31], s[10:11], v[120:121] op_sel:[0,0,1] op_sel_hi:[1,0,0]
	v_pk_fma_f32 v[120:121], v[30:31], s[10:11], v[120:121] op_sel:[0,0,1] op_sel_hi:[1,0,0] neg_lo:[0,0,1] neg_hi:[0,0,1]
	v_mov_b32_e32 v124, v122
	v_mov_b32_e32 v125, v121
	v_pk_add_f32 v[114:115], v[124:125], v[114:115]
	v_pk_mul_f32 v[124:125], v[32:33], s[18:19] op_sel_hi:[1,0]
	v_pk_fma_f32 v[136:137], v[26:27], s[12:13], v[134:135] op_sel:[0,0,1] op_sel_hi:[1,0,0]
	v_pk_fma_f32 v[126:127], v[34:35], s[8:9], v[124:125] op_sel:[0,0,1] op_sel_hi:[1,0,0]
	v_pk_fma_f32 v[124:125], v[34:35], s[8:9], v[124:125] op_sel:[0,0,1] op_sel_hi:[1,0,0] neg_lo:[0,0,1] neg_hi:[0,0,1]
	v_mov_b32_e32 v128, v126
	v_mov_b32_e32 v129, v125
	v_pk_add_f32 v[114:115], v[128:129], v[114:115]
	v_pk_mul_f32 v[128:129], v[36:37], s[20:21] op_sel_hi:[1,0]
	v_pk_fma_f32 v[134:135], v[26:27], s[12:13], v[134:135] op_sel:[0,0,1] op_sel_hi:[1,0,0] neg_lo:[0,0,1] neg_hi:[0,0,1]
	v_pk_fma_f32 v[130:131], v[38:39], s[14:15], v[128:129] op_sel:[0,0,1] op_sel_hi:[1,0,0]
	v_pk_fma_f32 v[128:129], v[38:39], s[14:15], v[128:129] op_sel:[0,0,1] op_sel_hi:[1,0,0] neg_lo:[0,0,1] neg_hi:[0,0,1]
	v_mov_b32_e32 v132, v130
	v_mov_b32_e32 v133, v129
	v_pk_add_f32 v[114:115], v[132:133], v[114:115]
	ds_write2_b64 v84, v[6:7], v[114:115] offset0:32 offset1:48
	v_pk_mul_f32 v[6:7], v[0:1], s[20:21] op_sel_hi:[1,0]
	v_mov_b32_e32 v138, v136
	v_pk_fma_f32 v[114:115], v[20:21], s[14:15], v[6:7] op_sel:[0,0,1] op_sel_hi:[1,0,0]
	v_pk_fma_f32 v[6:7], v[20:21], s[14:15], v[6:7] op_sel:[0,0,1] op_sel_hi:[1,0,0] neg_lo:[0,0,1] neg_hi:[0,0,1]
	v_mov_b32_e32 v132, v114
	v_mov_b32_e32 v133, v7
	v_pk_add_f32 v[132:133], v[24:25], v[132:133]
	v_mov_b32_e32 v139, v135
	v_pk_add_f32 v[132:133], v[138:139], v[132:133]
	v_pk_mul_f32 v[138:139], v[28:29], s[18:19] op_sel_hi:[1,0]
	v_pk_mul_f32 v[0:1], v[0:1], s[24:25] op_sel_hi:[1,0]
	v_pk_fma_f32 v[140:141], v[30:31], s[8:9], v[138:139] op_sel:[0,0,1] op_sel_hi:[1,0,0]
	v_pk_fma_f32 v[138:139], v[30:31], s[8:9], v[138:139] op_sel:[0,0,1] op_sel_hi:[1,0,0] neg_lo:[0,0,1] neg_hi:[0,0,1]
	v_mov_b32_e32 v142, v140
	v_mov_b32_e32 v143, v139
	v_pk_add_f32 v[132:133], v[142:143], v[132:133]
	v_pk_mul_f32 v[142:143], v[32:33], s[24:25] op_sel_hi:[1,0]
	v_pk_mul_f32 v[22:23], v[22:23], s[30:31] op_sel_hi:[1,0]
	v_pk_fma_f32 v[144:145], v[34:35], s[22:23], v[142:143] op_sel:[0,0,1] op_sel_hi:[1,0,0]
	v_pk_fma_f32 v[142:143], v[34:35], s[22:23], v[142:143] op_sel:[0,0,1] op_sel_hi:[1,0,0] neg_lo:[0,0,1] neg_hi:[0,0,1]
	v_mov_b32_e32 v146, v144
	v_mov_b32_e32 v147, v143
	v_pk_add_f32 v[132:133], v[146:147], v[132:133]
	v_pk_mul_f32 v[146:147], v[36:37], s[26:27] op_sel_hi:[1,0]
	v_pk_fma_f32 v[152:153], v[26:27], s[8:9], v[22:23] op_sel:[0,0,1] op_sel_hi:[1,0,0]
	v_pk_fma_f32 v[148:149], v[38:39], s[10:11], v[146:147] op_sel:[0,0,1] op_sel_hi:[1,0,0]
	v_pk_fma_f32 v[146:147], v[38:39], s[10:11], v[146:147] op_sel:[0,0,1] op_sel_hi:[1,0,0] neg_lo:[0,0,1] neg_hi:[0,0,1]
	v_mov_b32_e32 v150, v148
	v_mov_b32_e32 v151, v147
	v_pk_add_f32 v[132:133], v[150:151], v[132:133]
	v_pk_fma_f32 v[150:151], v[20:21], s[22:23], v[0:1] op_sel:[0,0,1] op_sel_hi:[1,0,0]
	v_pk_fma_f32 v[0:1], v[20:21], s[22:23], v[0:1] op_sel:[0,0,1] op_sel_hi:[1,0,0] neg_lo:[0,0,1] neg_hi:[0,0,1]
	v_mov_b32_e32 v20, v150
	v_mov_b32_e32 v21, v1
	v_pk_fma_f32 v[22:23], v[26:27], s[8:9], v[22:23] op_sel:[0,0,1] op_sel_hi:[1,0,0] neg_lo:[0,0,1] neg_hi:[0,0,1]
	v_pk_mul_f32 v[28:29], v[28:29], s[20:21] op_sel_hi:[1,0]
	v_pk_add_f32 v[20:21], v[24:25], v[20:21]
	v_mov_b32_e32 v26, v152
	v_mov_b32_e32 v27, v23
	v_pk_add_f32 v[20:21], v[26:27], v[20:21]
	v_pk_fma_f32 v[26:27], v[30:31], s[14:15], v[28:29] op_sel:[0,0,1] op_sel_hi:[1,0,0]
	v_pk_fma_f32 v[28:29], v[30:31], s[14:15], v[28:29] op_sel:[0,0,1] op_sel_hi:[1,0,0] neg_lo:[0,0,1] neg_hi:[0,0,1]
	v_pk_mul_f32 v[32:33], v[32:33], s[26:27] op_sel_hi:[1,0]
	v_mov_b32_e32 v30, v26
	v_mov_b32_e32 v31, v29
	;; [unrolled: 1-line block ×4, first 2 shown]
	v_pk_add_f32 v[20:21], v[30:31], v[20:21]
	v_pk_fma_f32 v[30:31], v[34:35], s[10:11], v[32:33] op_sel:[0,0,1] op_sel_hi:[1,0,0]
	v_pk_fma_f32 v[32:33], v[34:35], s[10:11], v[32:33] op_sel:[0,0,1] op_sel_hi:[1,0,0] neg_lo:[0,0,1] neg_hi:[0,0,1]
	v_pk_add_f32 v[0:1], v[24:25], v[0:1]
	v_mov_b32_e32 v23, v153
	v_pk_add_f32 v[6:7], v[24:25], v[6:7]
	v_mov_b32_e32 v135, v137
	v_pk_mul_f32 v[36:37], v[36:37], s[16:17] op_sel_hi:[1,0]
	v_mov_b32_e32 v34, v30
	v_mov_b32_e32 v35, v33
	v_pk_add_f32 v[0:1], v[22:23], v[0:1]
	v_mov_b32_e32 v29, v27
	v_pk_add_f32 v[6:7], v[134:135], v[6:7]
	;; [unrolled: 2-line block ×3, first 2 shown]
	v_pk_fma_f32 v[34:35], v[38:39], s[12:13], v[36:37] op_sel:[0,0,1] op_sel_hi:[1,0,0]
	v_pk_fma_f32 v[36:37], v[38:39], s[12:13], v[36:37] op_sel:[0,0,1] op_sel_hi:[1,0,0] neg_lo:[0,0,1] neg_hi:[0,0,1]
	v_pk_add_f32 v[0:1], v[28:29], v[0:1]
	v_mov_b32_e32 v33, v31
	v_pk_add_f32 v[6:7], v[138:139], v[6:7]
	v_mov_b32_e32 v143, v145
	v_mov_b32_e32 v39, v37
	v_pk_add_f32 v[0:1], v[32:33], v[0:1]
	v_mov_b32_e32 v37, v35
	v_pk_add_f32 v[6:7], v[142:143], v[6:7]
	;; [unrolled: 2-line block ×3, first 2 shown]
	v_pk_add_f32 v[6:7], v[146:147], v[6:7]
	v_mov_b32_e32 v111, v113
	v_mov_b32_e32 v3, v5
	ds_write2_b64 v84, v[0:1], v[6:7] offset0:96 offset1:112
	v_pk_add_f32 v[0:1], v[24:25], v[110:111]
	v_mov_b32_e32 v117, v119
	v_pk_add_f32 v[2:3], v[24:25], v[2:3]
	v_mov_b32_e32 v9, v11
	;; [unrolled: 2-line block ×8, first 2 shown]
	v_pk_add_f32 v[0:1], v[128:129], v[0:1]
	v_pk_add_f32 v[2:3], v[90:91], v[2:3]
	v_mov_b32_e32 v79, v89
	ds_write2_b64 v84, v[0:1], v[2:3] offset0:128 offset1:144
	v_pk_add_f32 v[0:1], v[24:25], v[78:79]
	v_mov_b32_e32 v93, v95
	v_pk_add_f32 v[0:1], v[92:93], v[0:1]
	v_mov_b32_e32 v97, v99
	;; [unrolled: 2-line block ×3, first 2 shown]
	v_mov_b32_e32 v38, v34
	v_pk_add_f32 v[0:1], v[100:101], v[0:1]
	v_mov_b32_e32 v105, v107
	v_pk_add_f32 v[20:21], v[38:39], v[20:21]
	v_pk_add_f32 v[0:1], v[104:105], v[0:1]
	ds_write2_b64 v84, v[132:133], v[20:21] offset0:64 offset1:80
	ds_write_b64 v84, v[0:1] offset:1280
.LBB0_9:
	s_or_b64 exec, exec, s[0:1]
	v_add_u32_e32 v24, 0x800, v47
	s_waitcnt lgkmcnt(0)
	s_barrier
	ds_read2_b64 v[0:3], v24 offset0:96 offset1:184
	ds_read2_b64 v[4:7], v47 offset1:88
	v_add_u32_e32 v25, 0x1000, v47
	v_add_u32_e32 v26, 0x400, v47
	v_mov_b32_e32 v8, s2
	s_waitcnt lgkmcnt(1)
	v_pk_mul_f32 v[10:11], v[66:67], v[0:1]
	v_mov_b32_e32 v9, s3
	v_pk_fma_f32 v[12:13], v[80:81], v[0:1], v[10:11] op_sel:[0,0,1] op_sel_hi:[1,1,0]
	v_pk_fma_f32 v[0:1], v[80:81], v[0:1], v[10:11] op_sel:[0,0,1] op_sel_hi:[1,1,0] neg_lo:[0,0,1] neg_hi:[0,0,1]
	s_nop 0
	v_mov_b32_e32 v13, v1
	s_waitcnt lgkmcnt(0)
	v_pk_add_f32 v[10:11], v[4:5], v[12:13] neg_lo:[0,1] neg_hi:[0,1]
	v_pk_mul_f32 v[0:1], v[68:69], v[2:3]
	v_pk_fma_f32 v[12:13], v[4:5], 2.0, v[10:11] op_sel_hi:[1,0,1] neg_lo:[0,0,1] neg_hi:[0,0,1]
	v_pk_fma_f32 v[4:5], v[82:83], v[2:3], v[0:1] op_sel:[0,0,1] op_sel_hi:[1,1,0]
	v_pk_fma_f32 v[0:1], v[82:83], v[2:3], v[0:1] op_sel:[0,0,1] op_sel_hi:[1,1,0] neg_lo:[0,0,1] neg_hi:[0,0,1]
	s_nop 0
	v_mov_b32_e32 v5, v1
	ds_read2_b64 v[0:3], v25 offset0:16 offset1:104
	v_pk_add_f32 v[14:15], v[6:7], v[4:5] neg_lo:[0,1] neg_hi:[0,1]
	s_waitcnt lgkmcnt(0)
	v_pk_mul_f32 v[18:19], v[68:69], v[2:3]
	v_pk_fma_f32 v[16:17], v[6:7], 2.0, v[14:15] op_sel_hi:[1,0,1] neg_lo:[0,0,1] neg_hi:[0,0,1]
	ds_read2_b64 v[4:7], v26 offset0:48 offset1:136
	v_pk_fma_f32 v[20:21], v[82:83], v[2:3], v[18:19] op_sel:[0,0,1] op_sel_hi:[1,1,0]
	v_pk_fma_f32 v[2:3], v[82:83], v[2:3], v[18:19] op_sel:[0,0,1] op_sel_hi:[1,1,0] neg_lo:[0,0,1] neg_hi:[0,0,1]
	v_pk_mul_f32 v[18:19], v[66:67], v[0:1]
	v_mov_b32_e32 v21, v3
	s_waitcnt lgkmcnt(0)
	v_pk_add_f32 v[2:3], v[6:7], v[20:21] neg_lo:[0,1] neg_hi:[0,1]
	v_pk_fma_f32 v[20:21], v[80:81], v[0:1], v[18:19] op_sel:[0,0,1] op_sel_hi:[1,1,0]
	v_pk_fma_f32 v[0:1], v[80:81], v[0:1], v[18:19] op_sel:[0,0,1] op_sel_hi:[1,1,0] neg_lo:[0,0,1] neg_hi:[0,0,1]
	v_pk_fma_f32 v[6:7], v[6:7], 2.0, v[2:3] op_sel_hi:[1,0,1] neg_lo:[0,0,1] neg_hi:[0,0,1]
	v_mov_b32_e32 v21, v1
	v_pk_add_f32 v[0:1], v[4:5], v[20:21] neg_lo:[0,1] neg_hi:[0,1]
	s_nop 0
	v_pk_fma_f32 v[4:5], v[4:5], 2.0, v[0:1] op_sel_hi:[1,0,1] neg_lo:[0,0,1] neg_hi:[0,0,1]
	s_barrier
	ds_write2_b64 v47, v[12:13], v[16:17] offset1:88
	ds_write2_b64 v26, v[10:11], v[14:15] offset0:48 offset1:136
	ds_write2_b64 v24, v[4:5], v[6:7] offset0:96 offset1:184
	;; [unrolled: 1-line block ×3, first 2 shown]
	s_waitcnt lgkmcnt(0)
	s_barrier
	ds_read2_b64 v[0:3], v24 offset0:96 offset1:184
	ds_read2_b64 v[4:7], v47 offset1:88
	v_mad_u64_u32 v[10:11], s[0:1], s6, v46, 0
	s_mul_i32 s6, s5, 0xb00
	s_waitcnt lgkmcnt(1)
	v_pk_mul_f32 v[12:13], v[76:77], v[0:1]
	s_nop 0
	v_pk_fma_f32 v[14:15], v[64:65], v[0:1], v[12:13] op_sel:[0,0,1] op_sel_hi:[1,1,0]
	v_pk_fma_f32 v[0:1], v[64:65], v[0:1], v[12:13] op_sel:[0,0,1] op_sel_hi:[1,1,0] neg_lo:[0,0,1] neg_hi:[0,0,1]
	s_nop 0
	v_mov_b32_e32 v15, v1
	s_waitcnt lgkmcnt(0)
	v_pk_add_f32 v[12:13], v[4:5], v[14:15] neg_lo:[0,1] neg_hi:[0,1]
	v_pk_mul_f32 v[0:1], v[74:75], v[2:3]
	v_pk_fma_f32 v[14:15], v[4:5], 2.0, v[12:13] op_sel_hi:[1,0,1] neg_lo:[0,0,1] neg_hi:[0,0,1]
	v_pk_fma_f32 v[4:5], v[62:63], v[2:3], v[0:1] op_sel:[0,0,1] op_sel_hi:[1,1,0]
	v_pk_fma_f32 v[16:17], v[62:63], v[2:3], v[0:1] op_sel:[0,0,1] op_sel_hi:[1,1,0] neg_lo:[0,0,1] neg_hi:[0,0,1]
	ds_read2_b64 v[0:3], v25 offset0:16 offset1:104
	v_mov_b32_e32 v5, v17
	v_pk_add_f32 v[16:17], v[6:7], v[4:5] neg_lo:[0,1] neg_hi:[0,1]
	s_waitcnt lgkmcnt(0)
	v_pk_mul_f32 v[20:21], v[72:73], v[0:1]
	v_pk_fma_f32 v[18:19], v[6:7], 2.0, v[16:17] op_sel_hi:[1,0,1] neg_lo:[0,0,1] neg_hi:[0,0,1]
	ds_read2_b64 v[4:7], v26 offset0:48 offset1:136
	ds_write2_b64 v47, v[14:15], v[18:19] offset1:88
	v_pk_mul_f32 v[14:15], v[70:71], v[2:3]
	v_pk_fma_f32 v[22:23], v[60:61], v[0:1], v[20:21] op_sel:[0,0,1] op_sel_hi:[1,1,0]
	v_pk_fma_f32 v[0:1], v[60:61], v[0:1], v[20:21] op_sel:[0,0,1] op_sel_hi:[1,1,0] neg_lo:[0,0,1] neg_hi:[0,0,1]
	v_pk_fma_f32 v[18:19], v[58:59], v[2:3], v[14:15] op_sel:[0,0,1] op_sel_hi:[1,1,0]
	v_pk_fma_f32 v[2:3], v[58:59], v[2:3], v[14:15] op_sel:[0,0,1] op_sel_hi:[1,1,0] neg_lo:[0,0,1] neg_hi:[0,0,1]
	v_mov_b32_e32 v23, v1
	v_mov_b32_e32 v19, v3
	s_waitcnt lgkmcnt(1)
	v_pk_add_f32 v[0:1], v[4:5], v[22:23] neg_lo:[0,1] neg_hi:[0,1]
	v_pk_add_f32 v[2:3], v[6:7], v[18:19] neg_lo:[0,1] neg_hi:[0,1]
	v_pk_fma_f32 v[4:5], v[4:5], 2.0, v[0:1] op_sel_hi:[1,0,1] neg_lo:[0,0,1] neg_hi:[0,0,1]
	v_pk_fma_f32 v[6:7], v[6:7], 2.0, v[2:3] op_sel_hi:[1,0,1] neg_lo:[0,0,1] neg_hi:[0,0,1]
	ds_write2_b64 v24, v[12:13], v[16:17] offset0:96 offset1:184
	ds_write_b64 v86, v[0:1] offset:2816
	ds_write2_b64 v26, v[4:5], v[6:7] offset0:48 offset1:136
	ds_write_b64 v85, v[2:3] offset:2816
	s_waitcnt lgkmcnt(0)
	s_barrier
	ds_read2_b64 v[0:3], v47 offset1:88
	v_mov_b32_e32 v4, v11
	v_mad_u64_u32 v[4:5], s[0:1], s7, v46, v[4:5]
	v_mov_b32_e32 v11, v4
	s_waitcnt lgkmcnt(0)
	v_mul_f32_e32 v4, v57, v1
	v_fmac_f32_e32 v4, v56, v0
	v_mul_f32_e32 v0, v57, v0
	s_mov_b32 s0, 0x745d1746
	v_fma_f32 v0, v56, v1, -v0
	s_mov_b32 s1, 0x3f5745d1
	v_cvt_f64_f32_e32 v[0:1], v0
	v_cvt_f64_f32_e32 v[4:5], v4
	v_mul_f64 v[0:1], v[0:1], s[0:1]
	v_mul_f64 v[4:5], v[4:5], s[0:1]
	v_cvt_f32_f64_e32 v13, v[0:1]
	v_mad_u64_u32 v[0:1], s[2:3], s4, v160, 0
	v_cvt_f32_f64_e32 v12, v[4:5]
	v_mov_b32_e32 v4, v1
	v_mad_u64_u32 v[14:15], s[2:3], s5, v160, v[4:5]
	ds_read2_b64 v[4:7], v24 offset0:96 offset1:184
	v_mov_b32_e32 v1, v14
	v_lshl_add_u64 v[8:9], v[10:11], 3, v[8:9]
	v_lshl_add_u64 v[0:1], v[0:1], 3, v[8:9]
	global_store_dwordx2 v[0:1], v[12:13], off
	s_waitcnt lgkmcnt(0)
	v_mul_f32_e32 v8, v55, v5
	v_fmac_f32_e32 v8, v54, v4
	v_mul_f32_e32 v4, v55, v4
	v_fma_f32 v4, v54, v5, -v4
	v_cvt_f64_f32_e32 v[8:9], v8
	v_cvt_f64_f32_e32 v[4:5], v4
	v_mul_f64 v[8:9], v[8:9], s[0:1]
	v_mul_f64 v[4:5], v[4:5], s[0:1]
	v_mov_b32_e32 v12, 0xb00
	v_cvt_f32_f64_e32 v8, v[8:9]
	v_cvt_f32_f64_e32 v9, v[4:5]
	v_mad_u64_u32 v[0:1], s[2:3], s4, v12, v[0:1]
	v_mul_f32_e32 v4, v53, v3
	v_add_u32_e32 v1, s6, v1
	v_fmac_f32_e32 v4, v52, v2
	v_mul_f32_e32 v2, v53, v2
	v_mov_b32_e32 v13, 0xfffff7c0
	global_store_dwordx2 v[0:1], v[8:9], off
	v_fma_f32 v2, v52, v3, -v2
	v_mad_u64_u32 v[8:9], s[2:3], s4, v13, v[0:1]
	v_mul_f32_e32 v0, v51, v7
	v_cvt_f64_f32_e32 v[4:5], v4
	v_cvt_f64_f32_e32 v[2:3], v2
	s_mul_i32 s2, s5, 0xfffff7c0
	v_fmac_f32_e32 v0, v50, v6
	v_mul_f64 v[4:5], v[4:5], s[0:1]
	v_mul_f64 v[2:3], v[2:3], s[0:1]
	s_sub_i32 s5, s2, s4
	v_cvt_f64_f32_e32 v[0:1], v0
	v_cvt_f32_f64_e32 v4, v[4:5]
	v_cvt_f32_f64_e32 v5, v[2:3]
	v_add_u32_e32 v9, s5, v9
	v_mul_f64 v[0:1], v[0:1], s[0:1]
	global_store_dwordx2 v[8:9], v[4:5], off
	v_cvt_f32_f64_e32 v4, v[0:1]
	v_mul_f32_e32 v0, v51, v6
	v_fma_f32 v0, v50, v7, -v0
	v_cvt_f64_f32_e32 v[0:1], v0
	v_mul_f64 v[0:1], v[0:1], s[0:1]
	v_cvt_f32_f64_e32 v5, v[0:1]
	ds_read2_b64 v[0:3], v26 offset0:48 offset1:136
	v_mad_u64_u32 v[8:9], s[2:3], s4, v12, v[8:9]
	v_add_u32_e32 v9, s6, v9
	global_store_dwordx2 v[8:9], v[4:5], off
	s_waitcnt lgkmcnt(0)
	v_mul_f32_e32 v4, v49, v1
	v_fmac_f32_e32 v4, v48, v0
	v_cvt_f64_f32_e32 v[4:5], v4
	v_mul_f64 v[4:5], v[4:5], s[0:1]
	v_cvt_f32_f64_e32 v10, v[4:5]
	ds_read2_b64 v[4:7], v25 offset0:16 offset1:104
	v_mul_f32_e32 v0, v49, v0
	v_fma_f32 v0, v48, v1, -v0
	v_cvt_f64_f32_e32 v[0:1], v0
	v_mul_f64 v[0:1], v[0:1], s[0:1]
	v_cvt_f32_f64_e32 v11, v[0:1]
	v_mad_u64_u32 v[0:1], s[2:3], s4, v13, v[8:9]
	s_waitcnt lgkmcnt(0)
	v_mul_f32_e32 v8, v45, v5
	v_fmac_f32_e32 v8, v44, v4
	v_mul_f32_e32 v4, v45, v4
	v_fma_f32 v4, v44, v5, -v4
	v_cvt_f64_f32_e32 v[8:9], v8
	v_cvt_f64_f32_e32 v[4:5], v4
	v_mul_f64 v[8:9], v[8:9], s[0:1]
	v_mul_f64 v[4:5], v[4:5], s[0:1]
	v_cvt_f32_f64_e32 v8, v[8:9]
	v_cvt_f32_f64_e32 v9, v[4:5]
	v_mul_f32_e32 v4, v43, v3
	v_fmac_f32_e32 v4, v42, v2
	v_mul_f32_e32 v2, v43, v2
	v_fma_f32 v2, v42, v3, -v2
	v_cvt_f64_f32_e32 v[4:5], v4
	v_cvt_f64_f32_e32 v[2:3], v2
	v_mul_f64 v[4:5], v[4:5], s[0:1]
	v_mul_f64 v[2:3], v[2:3], s[0:1]
	v_cvt_f32_f64_e32 v4, v[4:5]
	v_cvt_f32_f64_e32 v5, v[2:3]
	v_mul_f32_e32 v2, v41, v7
	v_add_u32_e32 v1, s5, v1
	v_fmac_f32_e32 v2, v40, v6
	global_store_dwordx2 v[0:1], v[10:11], off
	v_mad_u64_u32 v[0:1], s[2:3], s4, v12, v[0:1]
	v_cvt_f64_f32_e32 v[2:3], v2
	v_add_u32_e32 v1, s6, v1
	v_mul_f64 v[2:3], v[2:3], s[0:1]
	global_store_dwordx2 v[0:1], v[8:9], off
	v_mad_u64_u32 v[0:1], s[2:3], s4, v13, v[0:1]
	v_cvt_f32_f64_e32 v2, v[2:3]
	v_mul_f32_e32 v3, v41, v6
	v_add_u32_e32 v1, s5, v1
	v_fma_f32 v3, v40, v7, -v3
	global_store_dwordx2 v[0:1], v[4:5], off
	v_cvt_f64_f32_e32 v[4:5], v3
	v_mul_f64 v[4:5], v[4:5], s[0:1]
	v_mad_u64_u32 v[0:1], s[0:1], s4, v12, v[0:1]
	v_cvt_f32_f64_e32 v3, v[4:5]
	v_add_u32_e32 v1, s6, v1
	global_store_dwordx2 v[0:1], v[2:3], off
.LBB0_10:
	s_endpgm
	.section	.rodata,"a",@progbits
	.p2align	6, 0x0
	.amdhsa_kernel bluestein_single_back_len704_dim1_sp_op_CI_CI
		.amdhsa_group_segment_fixed_size 11264
		.amdhsa_private_segment_fixed_size 0
		.amdhsa_kernarg_size 104
		.amdhsa_user_sgpr_count 2
		.amdhsa_user_sgpr_dispatch_ptr 0
		.amdhsa_user_sgpr_queue_ptr 0
		.amdhsa_user_sgpr_kernarg_segment_ptr 1
		.amdhsa_user_sgpr_dispatch_id 0
		.amdhsa_user_sgpr_kernarg_preload_length 0
		.amdhsa_user_sgpr_kernarg_preload_offset 0
		.amdhsa_user_sgpr_private_segment_size 0
		.amdhsa_uses_dynamic_stack 0
		.amdhsa_enable_private_segment 0
		.amdhsa_system_sgpr_workgroup_id_x 1
		.amdhsa_system_sgpr_workgroup_id_y 0
		.amdhsa_system_sgpr_workgroup_id_z 0
		.amdhsa_system_sgpr_workgroup_info 0
		.amdhsa_system_vgpr_workitem_id 0
		.amdhsa_next_free_vgpr 182
		.amdhsa_next_free_sgpr 38
		.amdhsa_accum_offset 184
		.amdhsa_reserve_vcc 1
		.amdhsa_float_round_mode_32 0
		.amdhsa_float_round_mode_16_64 0
		.amdhsa_float_denorm_mode_32 3
		.amdhsa_float_denorm_mode_16_64 3
		.amdhsa_dx10_clamp 1
		.amdhsa_ieee_mode 1
		.amdhsa_fp16_overflow 0
		.amdhsa_tg_split 0
		.amdhsa_exception_fp_ieee_invalid_op 0
		.amdhsa_exception_fp_denorm_src 0
		.amdhsa_exception_fp_ieee_div_zero 0
		.amdhsa_exception_fp_ieee_overflow 0
		.amdhsa_exception_fp_ieee_underflow 0
		.amdhsa_exception_fp_ieee_inexact 0
		.amdhsa_exception_int_div_zero 0
	.end_amdhsa_kernel
	.text
.Lfunc_end0:
	.size	bluestein_single_back_len704_dim1_sp_op_CI_CI, .Lfunc_end0-bluestein_single_back_len704_dim1_sp_op_CI_CI
                                        ; -- End function
	.section	.AMDGPU.csdata,"",@progbits
; Kernel info:
; codeLenInByte = 9576
; NumSgprs: 44
; NumVgprs: 182
; NumAgprs: 0
; TotalNumVgprs: 182
; ScratchSize: 0
; MemoryBound: 0
; FloatMode: 240
; IeeeMode: 1
; LDSByteSize: 11264 bytes/workgroup (compile time only)
; SGPRBlocks: 5
; VGPRBlocks: 22
; NumSGPRsForWavesPerEU: 44
; NumVGPRsForWavesPerEU: 182
; AccumOffset: 184
; Occupancy: 2
; WaveLimiterHint : 1
; COMPUTE_PGM_RSRC2:SCRATCH_EN: 0
; COMPUTE_PGM_RSRC2:USER_SGPR: 2
; COMPUTE_PGM_RSRC2:TRAP_HANDLER: 0
; COMPUTE_PGM_RSRC2:TGID_X_EN: 1
; COMPUTE_PGM_RSRC2:TGID_Y_EN: 0
; COMPUTE_PGM_RSRC2:TGID_Z_EN: 0
; COMPUTE_PGM_RSRC2:TIDIG_COMP_CNT: 0
; COMPUTE_PGM_RSRC3_GFX90A:ACCUM_OFFSET: 45
; COMPUTE_PGM_RSRC3_GFX90A:TG_SPLIT: 0
	.text
	.p2alignl 6, 3212836864
	.fill 256, 4, 3212836864
	.type	__hip_cuid_37e26b23f6e89b87,@object ; @__hip_cuid_37e26b23f6e89b87
	.section	.bss,"aw",@nobits
	.globl	__hip_cuid_37e26b23f6e89b87
__hip_cuid_37e26b23f6e89b87:
	.byte	0                               ; 0x0
	.size	__hip_cuid_37e26b23f6e89b87, 1

	.ident	"AMD clang version 19.0.0git (https://github.com/RadeonOpenCompute/llvm-project roc-6.4.0 25133 c7fe45cf4b819c5991fe208aaa96edf142730f1d)"
	.section	".note.GNU-stack","",@progbits
	.addrsig
	.addrsig_sym __hip_cuid_37e26b23f6e89b87
	.amdgpu_metadata
---
amdhsa.kernels:
  - .agpr_count:     0
    .args:
      - .actual_access:  read_only
        .address_space:  global
        .offset:         0
        .size:           8
        .value_kind:     global_buffer
      - .actual_access:  read_only
        .address_space:  global
        .offset:         8
        .size:           8
        .value_kind:     global_buffer
      - .actual_access:  read_only
        .address_space:  global
        .offset:         16
        .size:           8
        .value_kind:     global_buffer
      - .actual_access:  read_only
        .address_space:  global
        .offset:         24
        .size:           8
        .value_kind:     global_buffer
      - .actual_access:  read_only
        .address_space:  global
        .offset:         32
        .size:           8
        .value_kind:     global_buffer
      - .offset:         40
        .size:           8
        .value_kind:     by_value
      - .address_space:  global
        .offset:         48
        .size:           8
        .value_kind:     global_buffer
      - .address_space:  global
        .offset:         56
        .size:           8
        .value_kind:     global_buffer
      - .address_space:  global
        .offset:         64
        .size:           8
        .value_kind:     global_buffer
      - .address_space:  global
        .offset:         72
        .size:           8
        .value_kind:     global_buffer
      - .offset:         80
        .size:           4
        .value_kind:     by_value
      - .address_space:  global
        .offset:         88
        .size:           8
        .value_kind:     global_buffer
      - .address_space:  global
        .offset:         96
        .size:           8
        .value_kind:     global_buffer
    .group_segment_fixed_size: 11264
    .kernarg_segment_align: 8
    .kernarg_segment_size: 104
    .language:       OpenCL C
    .language_version:
      - 2
      - 0
    .max_flat_workgroup_size: 176
    .name:           bluestein_single_back_len704_dim1_sp_op_CI_CI
    .private_segment_fixed_size: 0
    .sgpr_count:     44
    .sgpr_spill_count: 0
    .symbol:         bluestein_single_back_len704_dim1_sp_op_CI_CI.kd
    .uniform_work_group_size: 1
    .uses_dynamic_stack: false
    .vgpr_count:     182
    .vgpr_spill_count: 0
    .wavefront_size: 64
amdhsa.target:   amdgcn-amd-amdhsa--gfx950
amdhsa.version:
  - 1
  - 2
...

	.end_amdgpu_metadata
